;; amdgpu-corpus repo=ROCm/Tensile kind=harvested arch=n/a opt=n/a

/******************************************/
/* Function Prefix                        */
/******************************************/



/******************************************/
/* Begin Kernel                           */
/******************************************/

// Component.Signature.SignatureDefault
.amdgcn_target "amdgcn-amd-amdhsa--gfx90a"
.text
.protected Cijk_Ailk_Bjlk_CB_MT256x64x8_MI32x32x2x1_SN_1LDSB1_APM1_ABV0_ACED0_AF0EM1_AF1EM1_AMAS3_ASE_ASGT_ASLT_ASEM1_AAC0_BL1_BS1_CLR0_DTVA1_DVO0_ETSP_EPS1_EMLL0_FL0_GLVWA2_GLVWB2_GRPM1_GRVW2_GSU1_GSUASB_GLS0_ISA90a_IU1_K1_KLA_LBSPPA0_LBSPPB0_LPA0_LPB0_LDL1_LRVW1_LWPMn1_LDW0_FMA_MIAV1_MO40_MMFGLC_NTA0_NTB0_NTC3_NTD3_NEPBS0_NLCA1_NLCB1_ONLL1_OPLV0_PK0_PAP0_PGR2_PLR5_SIA3_SS1_SU32_SUM0_SUS256_SCIUI1_SPO1_SRVW0_SSO4_SVW2_SNLL0_TSGRA0_TSGRB0_TT2_64_TLDS0_UMLDSA0_UMLDSB0_USFGROn1_VAW1_VSn1_VW2_VWB1_VFLRP0_WSGRA0_WSGRB0_WG128_2_1_WGM2
.globl Cijk_Ailk_Bjlk_CB_MT256x64x8_MI32x32x2x1_SN_1LDSB1_APM1_ABV0_ACED0_AF0EM1_AF1EM1_AMAS3_ASE_ASGT_ASLT_ASEM1_AAC0_BL1_BS1_CLR0_DTVA1_DVO0_ETSP_EPS1_EMLL0_FL0_GLVWA2_GLVWB2_GRPM1_GRVW2_GSU1_GSUASB_GLS0_ISA90a_IU1_K1_KLA_LBSPPA0_LBSPPB0_LPA0_LPB0_LDL1_LRVW1_LWPMn1_LDW0_FMA_MIAV1_MO40_MMFGLC_NTA0_NTB0_NTC3_NTD3_NEPBS0_NLCA1_NLCB1_ONLL1_OPLV0_PK0_PAP0_PGR2_PLR5_SIA3_SS1_SU32_SUM0_SUS256_SCIUI1_SPO1_SRVW0_SSO4_SVW2_SNLL0_TSGRA0_TSGRB0_TT2_64_TLDS0_UMLDSA0_UMLDSB0_USFGROn1_VAW1_VSn1_VW2_VWB1_VFLRP0_WSGRA0_WSGRB0_WG128_2_1_WGM2
.p2align 8
.type Cijk_Ailk_Bjlk_CB_MT256x64x8_MI32x32x2x1_SN_1LDSB1_APM1_ABV0_ACED0_AF0EM1_AF1EM1_AMAS3_ASE_ASGT_ASLT_ASEM1_AAC0_BL1_BS1_CLR0_DTVA1_DVO0_ETSP_EPS1_EMLL0_FL0_GLVWA2_GLVWB2_GRPM1_GRVW2_GSU1_GSUASB_GLS0_ISA90a_IU1_K1_KLA_LBSPPA0_LBSPPB0_LPA0_LPB0_LDL1_LRVW1_LWPMn1_LDW0_FMA_MIAV1_MO40_MMFGLC_NTA0_NTB0_NTC3_NTD3_NEPBS0_NLCA1_NLCB1_ONLL1_OPLV0_PK0_PAP0_PGR2_PLR5_SIA3_SS1_SU32_SUM0_SUS256_SCIUI1_SPO1_SRVW0_SSO4_SVW2_SNLL0_TSGRA0_TSGRB0_TT2_64_TLDS0_UMLDSA0_UMLDSB0_USFGROn1_VAW1_VSn1_VW2_VWB1_VFLRP0_WSGRA0_WSGRB0_WG128_2_1_WGM2,@function
.section .rodata,#alloc
.p2align 6
.amdhsa_kernel Cijk_Ailk_Bjlk_CB_MT256x64x8_MI32x32x2x1_SN_1LDSB1_APM1_ABV0_ACED0_AF0EM1_AF1EM1_AMAS3_ASE_ASGT_ASLT_ASEM1_AAC0_BL1_BS1_CLR0_DTVA1_DVO0_ETSP_EPS1_EMLL0_FL0_GLVWA2_GLVWB2_GRPM1_GRVW2_GSU1_GSUASB_GLS0_ISA90a_IU1_K1_KLA_LBSPPA0_LBSPPB0_LPA0_LPB0_LDL1_LRVW1_LWPMn1_LDW0_FMA_MIAV1_MO40_MMFGLC_NTA0_NTB0_NTC3_NTD3_NEPBS0_NLCA1_NLCB1_ONLL1_OPLV0_PK0_PAP0_PGR2_PLR5_SIA3_SS1_SU32_SUM0_SUS256_SCIUI1_SPO1_SRVW0_SSO4_SVW2_SNLL0_TSGRA0_TSGRB0_TT2_64_TLDS0_UMLDSA0_UMLDSB0_USFGROn1_VAW1_VSn1_VW2_VWB1_VFLRP0_WSGRA0_WSGRB0_WG128_2_1_WGM2
  .amdhsa_user_sgpr_kernarg_segment_ptr 1
  .amdhsa_user_sgpr_kernarg_preload_offset 0
  .amdhsa_user_sgpr_kernarg_preload_length 0
  .amdhsa_user_sgpr_count 2
  .amdhsa_accum_offset 256 // accvgpr offset
  .amdhsa_next_free_vgpr 256 // vgprs
  .amdhsa_next_free_sgpr 65 // sgprs
  .amdhsa_group_segment_fixed_size 4096 // lds bytes
  .amdhsa_private_segment_fixed_size 0
  .amdhsa_system_sgpr_workgroup_id_x 1
  .amdhsa_system_sgpr_workgroup_id_y 1
  .amdhsa_system_sgpr_workgroup_id_z 1
  .amdhsa_system_vgpr_workitem_id 0
  .amdhsa_float_denorm_mode_32 3
  .amdhsa_float_denorm_mode_16_64 3
.end_amdhsa_kernel
.text

/******************************************/
/* Optimizations and Config:              */
/******************************************/
/* ThreadTile= 32 x 2 */
/* SubGroup= 8 x 32 */
/* VectorWidthA=2 */
/* VectorWidthB=1 */
/* GlobalLoadVectorWidthA=2, GlobalLoadVectorWidthB=2 */
/* DirectToLdsA=False */
/* DirectToLdsB=False */
/* UseSgprForGRO=False */
.amdgpu_metadata
---
amdhsa.version:
  - 1
  - 1
amdhsa.target: amdgcn-amd-amdhsa--gfx90a
amdhsa.kernels:
  - .name: Cijk_Ailk_Bjlk_CB_MT256x64x8_MI32x32x2x1_SN_1LDSB1_APM1_ABV0_ACED0_AF0EM1_AF1EM1_AMAS3_ASE_ASGT_ASLT_ASEM1_AAC0_BL1_BS1_CLR0_DTVA1_DVO0_ETSP_EPS1_EMLL0_FL0_GLVWA2_GLVWB2_GRPM1_GRVW2_GSU1_GSUASB_GLS0_ISA90a_IU1_K1_KLA_LBSPPA0_LBSPPB0_LPA0_LPB0_LDL1_LRVW1_LWPMn1_LDW0_FMA_MIAV1_MO40_MMFGLC_NTA0_NTB0_NTC3_NTD3_NEPBS0_NLCA1_NLCB1_ONLL1_OPLV0_PK0_PAP0_PGR2_PLR5_SIA3_SS1_SU32_SUM0_SUS256_SCIUI1_SPO1_SRVW0_SSO4_SVW2_SNLL0_TSGRA0_TSGRB0_TT2_64_TLDS0_UMLDSA0_UMLDSB0_USFGROn1_VAW1_VSn1_VW2_VWB1_VFLRP0_WSGRA0_WSGRB0_WG128_2_1_WGM2
    .symbol: 'Cijk_Ailk_Bjlk_CB_MT256x64x8_MI32x32x2x1_SN_1LDSB1_APM1_ABV0_ACED0_AF0EM1_AF1EM1_AMAS3_ASE_ASGT_ASLT_ASEM1_AAC0_BL1_BS1_CLR0_DTVA1_DVO0_ETSP_EPS1_EMLL0_FL0_GLVWA2_GLVWB2_GRPM1_GRVW2_GSU1_GSUASB_GLS0_ISA90a_IU1_K1_KLA_LBSPPA0_LBSPPB0_LPA0_LPB0_LDL1_LRVW1_LWPMn1_LDW0_FMA_MIAV1_MO40_MMFGLC_NTA0_NTB0_NTC3_NTD3_NEPBS0_NLCA1_NLCB1_ONLL1_OPLV0_PK0_PAP0_PGR2_PLR5_SIA3_SS1_SU32_SUM0_SUS256_SCIUI1_SPO1_SRVW0_SSO4_SVW2_SNLL0_TSGRA0_TSGRB0_TT2_64_TLDS0_UMLDSA0_UMLDSB0_USFGROn1_VAW1_VSn1_VW2_VWB1_VFLRP0_WSGRA0_WSGRB0_WG128_2_1_WGM2.kd'
    .language:                   OpenCL C
    .language_version:
      - 2
      - 0
    .args:
      - .name:            Tensor2dSizeA
        .size:            8
        .offset:          0
        .value_kind:      by_value
        .value_type:      u64
      - .name:            Tensor2dSizeB
        .size:            8
        .offset:          8
        .value_kind:      by_value
        .value_type:      u64
      - .name:            AddressD
        .size:            8
        .offset:          16
        .value_kind:      by_value
        .value_type:      u64
      - .name:            AddressC
        .size:            8
        .offset:          24
        .value_kind:      by_value
        .value_type:      u64
      - .name:            AddressA
        .size:            8
        .offset:          32
        .value_kind:      by_value
        .value_type:      u64
      - .name:            AddressB
        .size:            8
        .offset:          40
        .value_kind:      by_value
        .value_type:      u64
      - .name:            Alpha
        .size:            8
        .offset:          48
        .value_kind:      by_value
        .value_type:      u64
      - .name:            Beta
        .size:            8
        .offset:          56
        .value_kind:      by_value
        .value_type:      u64
      - .name:            StridesD
        .size:            8
        .offset:          64
        .value_kind:      by_value
        .value_type:      u64
      - .name:            StridesC
        .size:            8
        .offset:          72
        .value_kind:      by_value
        .value_type:      u64
      - .name:            StridesA
        .size:            8
        .offset:          80
        .value_kind:      by_value
        .value_type:      u64
      - .name:            StridesB
        .size:            8
        .offset:          88
        .value_kind:      by_value
        .value_type:      u64
      - .name:            SizesFree
        .size:            12
        .offset:          96
        .value_kind:      by_value
        .value_type:      u96
      - .name:            SizesSum
        .size:            4
        .offset:          108
        .value_kind:      by_value
        .value_type:      u32
      - .name:            OrigStaggerUIter
        .size:            4
        .offset:          112
        .value_kind:      by_value
        .value_type:      u32
      - .name:            NumWorkGroups0
        .size:            4
        .offset:          116
        .value_kind:      by_value
        .value_type:      u32
      - .name:            NumWorkGroups1
        .size:            4
        .offset:          120
        .value_kind:      by_value
        .value_type:      u32
      - .name:            NumFullBlocks
        .size:            4
        .offset:          124
        .value_kind:      by_value
        .value_type:      u32
      - .name:            WgmRemainder1
        .size:            4
        .offset:          128
        .value_kind:      by_value
        .value_type:      u32
      - .name:            MagicNumberWgmRemainder1
        .size:            4
        .offset:          132
        .value_kind:      by_value
        .value_type:      u32
    .group_segment_fixed_size:   4096
    .kernarg_segment_align:      8
    .kernarg_segment_size:       136
    .max_flat_workgroup_size:    256
    .private_segment_fixed_size: 0
    .sgpr_count:                 65
    .sgpr_spill_count:           0
    .vgpr_count:                 256
    .vgpr_spill_count:           0
    .wavefront_size:             64
...
.end_amdgpu_metadata
Cijk_Ailk_Bjlk_CB_MT256x64x8_MI32x32x2x1_SN_1LDSB1_APM1_ABV0_ACED0_AF0EM1_AF1EM1_AMAS3_ASE_ASGT_ASLT_ASEM1_AAC0_BL1_BS1_CLR0_DTVA1_DVO0_ETSP_EPS1_EMLL0_FL0_GLVWA2_GLVWB2_GRPM1_GRVW2_GSU1_GSUASB_GLS0_ISA90a_IU1_K1_KLA_LBSPPA0_LBSPPB0_LPA0_LPB0_LDL1_LRVW1_LWPMn1_LDW0_FMA_MIAV1_MO40_MMFGLC_NTA0_NTB0_NTC3_NTD3_NEPBS0_NLCA1_NLCB1_ONLL1_OPLV0_PK0_PAP0_PGR2_PLR5_SIA3_SS1_SU32_SUM0_SUS256_SCIUI1_SPO1_SRVW0_SSO4_SVW2_SNLL0_TSGRA0_TSGRB0_TT2_64_TLDS0_UMLDSA0_UMLDSB0_USFGROn1_VAW1_VSn1_VW2_VWB1_VFLRP0_WSGRA0_WSGRB0_WG128_2_1_WGM2:

/******************************************/
/* Asm syntax workarounds                 */
/******************************************/
.macro _v_add_co_u32 dst:req, cc:req, src0:req, src1:req, dpp=
   v_add_co_u32 \dst, \cc, \src0, \src1 \dpp
.endm

.macro _v_add_u32 dst:req, src0:req, src1:req, dpp=
   v_add_u32 \dst, \src0, \src1 \dpp
.endm

.macro _v_add_i32 dst:req, src0:req, src1:req, dpp=
   v_add_i32 \dst, \src0, \src1 \dpp
.endm

.macro _v_addc_co_u32 dst:req, ccOut:req, src0:req, ccIn:req, src1:req, dpp=
   v_addc_co_u32 \dst, \ccOut, \src0, \ccIn, \src1 \dpp
.endm

.macro _v_sub_co_u32 dst:req, cc:req, src0:req, src1:req, dpp=
   v_sub_co_u32 \dst, \cc, \src0, \src1 \dpp
.endm

.macro _v_sub_u32 dst:req, src0:req, src1:req, dpp=
   v_sub_u32 \dst, \src0, \src1 \dpp
.endm

.macro _v_sub_i32 dst:req, src0:req, src1:req, dpp=
   v_sub_i32 \dst, \src0, \src1 \dpp
.endm

.macro _v_add_lshl_u32 dst:req, src0:req, src1:req, shiftCnt:req
    v_add_lshl_u32 \dst, \src0, \src1, \shiftCnt
.endm

.macro _v_lshl_add_u32 dst:req, src0:req, src1:req, shiftCnt:req
    v_lshl_add_u32 \dst, \src0, \src1, \shiftCnt
.endm

.macro _v_lshl_or_b32 dst:req, src0:req, shiftCnt:req, src1:req
    v_lshl_or_b32 \dst, \src0, \shiftCnt, \src1
.endm

.macro _v_dot2acc_f32_f16 dst, src0, src1
v_dot2c_f32_f16 \dst, \src0, \src1
.endm

.macro _v_cmpx_lt_i16 dst, src0, src1=
   v_cmpx_lt_i16 \dst, \src0, \src1 
.endm

.macro _v_cmpx_lt_i32 dst, src0, src1=
   v_cmpx_lt_i32 \dst, \src0, \src1 
.endm

.macro _v_cmpx_lt_i64 dst, src0, src1=
   v_cmpx_lt_i64 \dst, \src0, \src1 
.endm

.macro _v_cmpx_lt_u16 dst, src0, src1=
   v_cmpx_lt_u16 \dst, \src0, \src1 
.endm

.macro _v_cmpx_lt_u32 dst, src0, src1=
   v_cmpx_lt_u32 \dst, \src0, \src1 
.endm

.macro _v_cmpx_lt_u64 dst, src0, src1=
   v_cmpx_lt_u64 \dst, \src0, \src1 
.endm

.macro _v_cmpx_eq_i16 dst, src0, src1=
   v_cmpx_eq_i16 \dst, \src0, \src1 
.endm

.macro _v_cmpx_eq_i32 dst, src0, src1=
   v_cmpx_eq_i32 \dst, \src0, \src1 
.endm

.macro _v_cmpx_eq_i64 dst, src0, src1=
   v_cmpx_eq_i64 \dst, \src0, \src1 
.endm

.macro _v_cmpx_eq_u16 dst, src0, src1=
   v_cmpx_eq_u16 \dst, \src0, \src1 
.endm

.macro _v_cmpx_eq_u32 dst, src0, src1=
   v_cmpx_eq_u32 \dst, \src0, \src1 
.endm

.macro _v_cmpx_eq_u64 dst, src0, src1=
   v_cmpx_eq_u64 \dst, \src0, \src1 
.endm

.macro _v_cmpx_le_i16 dst, src0, src1=
   v_cmpx_le_i16 \dst, \src0, \src1 
.endm

.macro _v_cmpx_le_i32 dst, src0, src1=
   v_cmpx_le_i32 \dst, \src0, \src1 
.endm

.macro _v_cmpx_le_i64 dst, src0, src1=
   v_cmpx_le_i64 \dst, \src0, \src1 
.endm

.macro _v_cmpx_le_u16 dst, src0, src1=
   v_cmpx_le_u16 \dst, \src0, \src1 
.endm

.macro _v_cmpx_le_u32 dst, src0, src1=
   v_cmpx_le_u32 \dst, \src0, \src1 
.endm

.macro _v_cmpx_le_u64 dst, src0, src1=
   v_cmpx_le_u64 \dst, \src0, \src1 
.endm

.macro _v_cmpx_gt_i16 dst, src0, src1=
   v_cmpx_gt_i16 \dst, \src0, \src1 
.endm

.macro _v_cmpx_gt_i32 dst, src0, src1=
   v_cmpx_gt_i32 \dst, \src0, \src1 
.endm

.macro _v_cmpx_gt_i64 dst, src0, src1=
   v_cmpx_gt_i64 \dst, \src0, \src1 
.endm

.macro _v_cmpx_gt_u16 dst, src0, src1=
   v_cmpx_gt_u16 \dst, \src0, \src1 
.endm

.macro _v_cmpx_gt_u32 dst, src0, src1=
   v_cmpx_gt_u32 \dst, \src0, \src1 
.endm

.macro _v_cmpx_gt_u64 dst, src0, src1=
   v_cmpx_gt_u64 \dst, \src0, \src1 
.endm

.macro _v_cmpx_ne_i16 dst, src0, src1=
   v_cmpx_ne_i16 \dst, \src0, \src1 
.endm

.macro _v_cmpx_ne_i32 dst, src0, src1=
   v_cmpx_ne_i32 \dst, \src0, \src1 
.endm

.macro _v_cmpx_ne_i64 dst, src0, src1=
   v_cmpx_ne_i64 \dst, \src0, \src1 
.endm

.macro _v_cmpx_ne_u16 dst, src0, src1=
   v_cmpx_ne_u16 \dst, \src0, \src1 
.endm

.macro _v_cmpx_ne_u32 dst, src0, src1=
   v_cmpx_ne_u32 \dst, \src0, \src1 
.endm

.macro _v_cmpx_ne_u64 dst, src0, src1=
   v_cmpx_ne_u64 \dst, \src0, \src1 
.endm

.macro _v_cmpx_lg_i16 dst, src0, src1=
   v_cmpx_lg_i16 \dst, \src0, \src1 
.endm

.macro _v_cmpx_lg_i32 dst, src0, src1=
   v_cmpx_lg_i32 \dst, \src0, \src1 
.endm

.macro _v_cmpx_lg_i64 dst, src0, src1=
   v_cmpx_lg_i64 \dst, \src0, \src1 
.endm

.macro _v_cmpx_lg_u16 dst, src0, src1=
   v_cmpx_lg_u16 \dst, \src0, \src1 
.endm

.macro _v_cmpx_lg_u32 dst, src0, src1=
   v_cmpx_lg_u32 \dst, \src0, \src1 
.endm

.macro _v_cmpx_lg_u64 dst, src0, src1=
   v_cmpx_lg_u64 \dst, \src0, \src1 
.endm

.macro _v_cmpx_ge_i16 dst, src0, src1=
   v_cmpx_ge_i16 \dst, \src0, \src1 
.endm

.macro _v_cmpx_ge_i32 dst, src0, src1=
   v_cmpx_ge_i32 \dst, \src0, \src1 
.endm

.macro _v_cmpx_ge_i64 dst, src0, src1=
   v_cmpx_ge_i64 \dst, \src0, \src1 
.endm

.macro _v_cmpx_ge_u16 dst, src0, src1=
   v_cmpx_ge_u16 \dst, \src0, \src1 
.endm

.macro _v_cmpx_ge_u32 dst, src0, src1=
   v_cmpx_ge_u32 \dst, \src0, \src1 
.endm

.macro _v_cmpx_ge_u64 dst, src0, src1=
   v_cmpx_ge_u64 \dst, \src0, \src1 
.endm

.macro _v_cmpx_o_i16 dst, src0, src1=
   v_cmpx_o_i16 \dst, \src0, \src1 
.endm

.macro _v_cmpx_o_i32 dst, src0, src1=
   v_cmpx_o_i32 \dst, \src0, \src1 
.endm

.macro _v_cmpx_o_i64 dst, src0, src1=
   v_cmpx_o_i64 \dst, \src0, \src1 
.endm

.macro _v_cmpx_o_u16 dst, src0, src1=
   v_cmpx_o_u16 \dst, \src0, \src1 
.endm

.macro _v_cmpx_o_u32 dst, src0, src1=
   v_cmpx_o_u32 \dst, \src0, \src1 
.endm

.macro _v_cmpx_o_u64 dst, src0, src1=
   v_cmpx_o_u64 \dst, \src0, \src1 
.endm

.macro _v_cmpx_u_i16 dst, src0, src1=
   v_cmpx_u_i16 \dst, \src0, \src1 
.endm

.macro _v_cmpx_u_i32 dst, src0, src1=
   v_cmpx_u_i32 \dst, \src0, \src1 
.endm

.macro _v_cmpx_u_i64 dst, src0, src1=
   v_cmpx_u_i64 \dst, \src0, \src1 
.endm

.macro _v_cmpx_u_u16 dst, src0, src1=
   v_cmpx_u_u16 \dst, \src0, \src1 
.endm

.macro _v_cmpx_u_u32 dst, src0, src1=
   v_cmpx_u_u32 \dst, \src0, \src1 
.endm

.macro _v_cmpx_u_u64 dst, src0, src1=
   v_cmpx_u_u64 \dst, \src0, \src1 
.endm
.macro _v_mac_f32 c:req, a:req, b:req
    v_fmac_f32 \c, \a, \b
.endmacro

/* scale global load macros */
.macro _s_load_b32 dst base offset
    s_load_dword \dst \base \offset
.endm

.macro _s_load_b64 dst base offset
    s_load_dwordx2 \dst \base \offset
.endm

.macro _s_load_b128 dst base offset
    s_load_dwordx4 \dst \base \offset
.endm

.macro _s_load_b256 dst base offset
    s_load_dwordx8 \dst \base \offset
.endm

.macro _s_load_b512 dst base offset
    s_load_dwordx16 \dst \base \offset
.endm


/* ds operation macros */
.macro _ds_load_u8 dst src offset
    ds_read_u8 \dst \src \offset
.endm

.macro _ds_load_u8_d16_hi dst src offset
    ds_read_u8_d16_hi \dst \src \offset
.endm

.macro _ds_load_u16 dst src offset
    ds_read_u16 \dst \src \offset
.endm

.macro _ds_load_u16_d16_hi dst src offset
    ds_read_u16_d16_hi \dst \src \offset
.endm

.macro _ds_load_b32 dst src offset
    ds_read_b32 \dst \src \offset
.endm

.macro _ds_load_b64 dst src offset
    ds_read_b64 \dst \src \offset
.endm

.macro _ds_load_b128 dst src offset
    ds_read_b128 \dst \src \offset
.endm

.macro _ds_store_b8 dst src offset
    ds_write_b8 \dst \src \offset
.endm

.macro _ds_store_b8_d16_hi dst src offset
    ds_write_b8_d16_hi \dst \src \offset
.endm

.macro _ds_store_b16 dst src offset
    ds_write_b16 \dst \src \offset
.endm

.macro _ds_store_b16_d16_hi dst src offset
    ds_write_b16_d16_hi \dst \src \offset
.endm

.macro _ds_store_b32 dst src offset
    ds_write_b32 \dst \src \offset
.endm

.macro _ds_store_b64 dst src offset
    ds_write_b64 \dst \src \offset
.endm

.macro _ds_store_b128 dst src offset
    ds_write_b128 \dst \src \offset
.endm

.macro _ds_load2_b32 dst src offset1 offset2
    ds_read2_b32 \dst \src \offset1 \offset2
.endm

.macro _ds_load2_b64 dst src offset1 offset2
    ds_read2_b64 \dst \src \offset1 \offset2
.endm

.macro _ds_store2_b32 dst src offset1 offset2
    ds_write2_b32 \dst \src \offset1 \offset2
.endm

.macro _ds_store2_b64 dst src offset1 offset2
    ds_write2_b64 \dst \src \offset1 \offset2
.endm


/* buffer memory operation macros */
.macro _buffer_load_b32 dst voffset base soffset offen ioffset md0 md1 md2
    buffer_load_dword \dst \voffset \base \soffset \offen \ioffset \md0 \md1 \md2
.endm

.macro _buffer_load_b64 dst voffset base soffset offen ioffset md0 md1 md2
    buffer_load_dwordx2 \dst \voffset \base \soffset \offen \ioffset \md0 \md1 \md2
.endm

.macro _buffer_load_b96 dst voffset base soffset offen ioffset md0 md1 md2
    buffer_load_dwordx3 \dst \voffset \base \soffset \offen \ioffset \md0 \md1 \md2
.endm

.macro _buffer_load_b128 dst voffset base soffset offen ioffset md0 md1 md2
    buffer_load_dwordx4 \dst \voffset \base \soffset \offen \ioffset \md0 \md1 \md2
.endm

.macro _buffer_load_d16_b16 dst voffset base soffset offen ioffset md0 md1 md2
    buffer_load_short_d16 \dst \voffset \base \soffset \offen \ioffset \md0 \md1 \md2
.endm

.macro _buffer_load_d16_hi_b16 dst voffset base soffset offen ioffset md0 md1 md2
    buffer_load_short_d16_hi \dst \voffset \base \soffset \offen \ioffset \md0 \md1 \md2
.endm

.macro _buffer_load_d16_u8 dst voffset base soffset offen ioffset md0 md1 md2
    buffer_load_ubyte_d16 \dst \voffset \base \soffset \offen \ioffset \md0 \md1 \md2
.endm

.macro _buffer_load_d16_hi_u8 dst voffset base soffset offen ioffset md0 md1 md2
    buffer_load_ubyte_d16_hi \dst \voffset \base \soffset \offen \ioffset \md0 \md1 \md2
.endm

.macro _buffer_load_u16 dst voffset base soffset offen ioffset md0 md1 md2
    buffer_load_ushort \dst \voffset \base \soffset \offen \ioffset \md0 \md1 \md2
.endm

.macro _buffer_load_b32_dtl voffset base soffset offen ioffset md0 md1 md2
    buffer_load_dword \voffset \base \soffset \offen \ioffset \md0 \md1 \md2
.endm

.macro _buffer_load_b64_dtl voffset base soffset offen ioffset md0 md1 md2
    buffer_load_dwordx2 \voffset \base \soffset \offen \ioffset \md0 \md1 \md2
.endm

.macro _buffer_load_b128_dtl voffset base soffset offen ioffset md0 md1 md2
    buffer_load_dwordx4 \voffset \base \soffset \offen \ioffset \md0 \md1 \md2
.endm

.macro _buffer_load_u16_dtl voffset base soffset offen ioffset md0 md1 md2
    buffer_load_ushort \voffset \base \soffset \offen \ioffset \md0 \md1 \md2
.endm

.macro _buffer_store_b32 src voffset base soffset offen ioffset md0 md1 md2
    buffer_store_dword \src \voffset \base \soffset \offen \ioffset \md0 \md1 \md2
.endm

.macro _buffer_store_b64 src voffset base soffset offen ioffset md0 md1 md2
    buffer_store_dwordx2 \src \voffset \base \soffset \offen \ioffset \md0 \md1 \md2
.endm

.macro _buffer_store_b96 src voffset base soffset offen ioffset md0 md1 md2
    buffer_store_dwordx3 \src \voffset \base \soffset \offen \ioffset \md0 \md1 \md2
.endm

.macro _buffer_store_b128 src voffset base soffset offen ioffset md0 md1 md2
    buffer_store_dwordx4 \src \voffset \base \soffset \offen \ioffset \md0 \md1 \md2
.endm

.macro _buffer_store_b16 src voffset base soffset offen ioffset md0 md1 md2
    buffer_store_short \src \voffset \base \soffset \offen \ioffset \md0 \md1 \md2
.endm

.macro _buffer_store_d16_hi_b16 src voffset base soffset offen ioffset md0 md1 md2
    buffer_store_short_d16_hi \src \voffset \base \soffset \offen \ioffset \md0 \md1 \md2
.endm

.macro _buffer_store_b8 src voffset base soffset offen ioffset md0 md1 md2
    buffer_store_byte \src \voffset \base \soffset \offen \ioffset \md0 \md1 \md2
.endm

.macro _buffer_store_d16_hi_b8 src voffset base soffset offen ioffset md0 md1 md2
    buffer_store_byte_d16_hi \src \voffset \base \soffset \offen \ioffset \md0 \md1 \md2
.endm

.macro _buffer_atomic_cmpswap_b32 dst voffset base soffset offen ioffset md0 md1 md2
    buffer_atomic_cmpswap \dst \voffset \base \soffset \offen \ioffset \md0 \md1 \md2
.endm

.macro _buffer_atomic_cmpswap_b64 dst voffset base soffset offen ioffset md0 md1 md2
    buffer_atomic_cmpswap_x2 \dst \voffset \base \soffset \offen \ioffset \md0 \md1 \md2
.endm


/* buffer memory operation macros */
.macro _global_load_b32 dst base src ioffset md0 md1 md2
    global_load_dword \dst \base \src \ioffset \md0 \md1 \md2
.endm

.macro _global_load_b64 dst base src ioffset md0 md1 md2
    global_load_dwordx2 \dst \base \src \ioffset \md0 \md1 \md2
.endm

.macro _global_load_b96 dst base src ioffset md0 md1 md2
    global_load_dwordx3 \dst \base \src \ioffset \md0 \md1 \md2
.endm

.macro _global_load_b128 dst base src ioffset md0 md1 md2
    global_load_dwordx4 \dst \base \src \ioffset \md0 \md1 \md2
.endm

.macro _global_load_d16_b16 dst base src ioffset md0 md1 md2
    global_load_short_d16 \dst \base \src \ioffset \md0 \md1 \md2
.endm

.macro _global_load_d16_hi_b16 dst base src ioffset md0 md1 md2
    global_load_short_d16_hi \dst \base \src \ioffset \md0 \md1 \md2
.endm

.macro _global_load_d16_u8 dst base src ioffset md0 md1 md2
    global_load_ubyte_d16 \dst \base \src \ioffset \md0 \md1 \md2
.endm

.macro _global_load_d16_hi_u8 dst base src ioffset md0 md1 md2
    global_load_ubyte_d16_hi \dst \base \src \ioffset \md0 \md1 \md2
.endm

.macro _global_load_u16 dst base src ioffset md0 md1 md2
    global_load_ushort \dst \base \src \ioffset \md0 \md1 \md2
.endm

.macro _global_store_b32 base src src2 md0 md1 md2
    global_store_dword \base \src \src2 \md0 \md1 \md2
.endm

.macro _global_store_b64 base src src2 md0 md1 md2
    global_store_dwordx2 \base \src \src2 \md0 \md1 \md2
.endm

.macro _global_store_b96 base src src2 md0 md1 md2
    global_store_dwordx3 \base \src \src2 \md0 \md1 \md2
.endm

.macro _global_store_b128 base src src2 md0 md1 md2
    global_store_dwordx4 \base \src \src2 \md0 \md1 \md2
.endm

.macro _global_store_d16_b16 base src src2 md0 md1 md2
    global_store_short \base \src \src2 \md0 \md1 \md2
.endm

.macro _global_store_d16_hi_b16 base src src2 md0 md1 md2
    global_store_short_d16_hi \base \src \src2 \md0 \md1 \md2
.endm

.macro _global_store_d16_u8 base src src2 md0 md1 md2
    global_store_ubyte_d16 \base \src \src2 \md0 \md1 \md2
.endm

.macro _global_store_d16_hi_u8 base src src2 md0 md1 md2
    global_store_ubyte_d16_hi \base \src \src2 \md0 \md1 \md2
.endm

.macro _global_store_u16 base src src2 md0 md1 md2
    global_store_ushort \base \src \src2 \md0 \md1 \md2
.endm

.macro _global_atomic_cmpswap_b32 tmp base data src ioffset md
    global_atomic_cmpswap \tmp \base \data \src \ioffset \md
.endm

.macro _global_atomic_cmpswap_b64 tmp base data src ioffset md
    global_atomic_cmpswap_x2 \tmp \base \data \src \ioffset \md
.endm


/******************************************/
/* Magic div and mod functions            */
/******************************************/
.macro V_MAGIC_DIV dstIdx:req, dividend:req, magicNumber:req, magicShift:req, magicA:req
    v_mul_hi_u32 v[\dstIdx+1], \dividend, \magicNumber
    v_mul_lo_u32 v[\dstIdx+0], \dividend, \magicA
    _v_add_u32 v[\dstIdx+0], v[\dstIdx+0], v[\dstIdx+1]
    v_lshrrev_b32 v[\dstIdx+0], \magicShift, v[\dstIdx+0]
.endm

/******************************************/
/* VGPR Assignments                       */
/******************************************/
/* ValuC range: [0-128), serializedStore enabled */
.set vgprValuC, 0
/* ValuA/B   Xn=PLR buffer idx,  In=InnerUnroll idx */
.set vgprG2LA, 150
.set vgprG2LA0, 150
.set vgprG2LA1, 166
.set vgprValuB_X0_I0, 128
.set vgprValuB_X1_I0, 132
.set vgprValuB_X2_I0, 136
.set vgprValuB_X3_I0, 140
.set vgprG2LB, 182
.set vgprLocalWriteAddrB, 144
.set vgprGlobalReadOffsetA, 145
.set vgprGlobalReadOffsetB, 149
.set vgprLocalReadAddrB, 186
.set vgprSerial, 187
/* Num VGPR=256 */
/* Num AccVGPR=0 */

/******************************************/
/* SGPR Assignments                       */
/******************************************/
.set sgprKernArgAddress, 0 // (2)
.set sgprWorkGroup0, 2 // (1)
.set sgprWorkGroup1, 3 // (1)
.set sgprWorkGroup2, 4 // (1)
.set sgprLoopCounterL, 5 // (1)
.set sgprOrigLoopCounter, 6 // (1)
.set sgprSrdA, 8 // (4)
.set sgprSrdB, 12 // (4)
.set sgprSrdD, 16 // (4)
.set sgprSrdC, 20 // (4)
.set sgprTensor2dSizeA, 24 // (2)
.set sgprTensor2dSizeB, 26 // (2)
.set sgprAddressD, 28 // (2)
.set sgprAddressC, 30 // (2)
.set sgprAddressA, 32 // (2)
.set sgprAddressB, 34 // (2)
.set sgprAlpha, 36 // (2)
.set sgprBeta, 38 // (2)
.set sgprStridesD, 40 // (2)
.set sgprStridesC, 42 // (2)
.set sgprStridesA, 44 // (2)
.set sgprStridesB, 46 // (2)
.set sgprSizesFree, 48 // (3)
.set sgprSizesSum, 51 // (1)
.set sgprOrigStaggerUIter, 52 // (1)
.set sgprNumWorkGroups0, 53 // (1)
.set sgprNumWorkGroups1, 54 // (1)
.set sgprNumFullBlocks, 55 // (1)
.set sgprWgmRemainder1, 56 // (1)
.set sgprMagicNumberWgmRemainder1, 57 // (1)
.set sgprShadowLimitA, 0 // (2)
.set sgprShadowLimitB, 28 // (2)
.set sgprStaggerUIter, 7 // (1)
.set sgprWrapUA, 30 // (2)
.set sgprWrapUB, 32 // (2)
.set sgprGlobalReadIncsA, 34 // (1)
.set sgprGlobalReadIncsB, 35 // (1)
/* max SGPR=65 */

/* Size Assignments */
.set sgprSizeI, sgprSizesFree+0
.set sgprSizeJ, sgprSizesFree+1
.set sgprSizeK, sgprSizesFree+2
.set sgprSizeL, sgprSizesSum+0

/* Stride Assignments */
.set constStrideD0I, 1
.set sgprStrideD1J, sgprStridesD+0
.set sgprStrideDK, sgprStridesD+1
.set constStrideC0I, 1
.set sgprStrideC1J, sgprStridesC+0
.set sgprStrideCK, sgprStridesC+1
.set constStrideA0I, 1
.set sgprStrideAL, sgprStridesA+0
.set sgprStrideAK, sgprStridesA+1
.set constStrideB1J, 1
.set sgprStrideBL, sgprStridesB+0
.set sgprStrideBK, sgprStridesB+1

.set MT0, 256
.set MT1, 64
.set DepthU, 8
.set GSU, 1
.set BpeA, 8
.set BpeALog2, 3
.set BpeB, 8
.set BpeBLog2, 3
/* Number of elements to shift-left SRD */
.set SrdShiftLeftA, 2
.set SrdShiftLeftB, 2
/* 2GB limit - set offsets to -1 to exceed this and clamp */
.set BufferLimitA, 0xffffffff
.set BufferLimitB, 0xffffffff
.set BufferOOB, 0xfffff000

/******************************************/
/* Bits 127:96 of SRD.                    */
/* hex: 0x00020000                        */
/* dst_sel_x (3b): 0                      */
/* dst_sel_y (3b): 0                      */
/* dst_sel_z (3b): 0                      */
/* dst_sel_w (3b): 0                      */
/* num_format (3b): 0                     */
/* data_format (4b): 4                    */
/* user_vm_enable (1b): 0                 */
/* user_vm_mode (1b): 0                   */
/* index_stride (2b): 0                   */
/* add_tid_enable (1b): 0                 */
/* _unusedA (3b): 0                       */
/* nv (1b): 0                             */
/* _unusedB (2b): 0                       */
/* type (2b): 0                           */
/******************************************/
.set Srd127_96, 0x00020000

/* Global Offset A */
.macro GLOBAL_OFFSET_A vgprAddr:req vgprOffset0I:req vgprOffsetL:req vgprTmp:req
v_mul_lo_u32 v[\vgprTmp+0], s[sgprStrideAL], v[\vgprOffsetL] // mul d1 lower
_v_add_co_u32 v[\vgprAddr+0], vcc, v[\vgprOffset0I], v[\vgprTmp+0] // accumulate K lower
_v_add_u32 v[\vgprAddr+0], 0x2, v[\vgprAddr+0]     // add prepad for pointer shift
v_lshlrev_b32 v[\vgprAddr+0], 0x3, v[\vgprAddr+0]  // offset *= bytes/element
.endm

/* Global Offset B */
.macro GLOBAL_OFFSET_B vgprAddr:req vgprOffset1J:req vgprOffsetL:req vgprTmp:req
v_mul_lo_u32 v[\vgprTmp+0], s[sgprStrideBL], v[\vgprOffsetL] // mul d1 lower
_v_add_co_u32 v[\vgprAddr+0], vcc, v[\vgprOffset1J], v[\vgprTmp+0] // accumulate K lower
_v_add_u32 v[\vgprAddr+0], 0x2, v[\vgprAddr+0]     // add prepad for pointer shift
v_lshlrev_b32 v[\vgprAddr+0], 0x3, v[\vgprAddr+0]  // offset *= bytes/element
.endm

/******************************************/
/* Dynamic Scalar Divide: vQuotient=vDividend/vDivisor; vRemainder=vDividend%vDivisor; */
/******************************************/
.macro DYNAMIC_VECTOR_DIVIDE vQuotient vRemainder vDividend vDivisor vTmp0 vTmp1 sTmp
v_cvt_f32_u32 v[\vQuotient], v[\vDivisor]          // 
v_rcp_f32 v[\vQuotient], v[\vQuotient]             // 
v_mul_f32 v[\vQuotient], 0x4f800000, v[\vQuotient] // 
v_cvt_u32_f32 v[\vQuotient], v[\vQuotient]         // 
v_mul_lo_u32 v[\vRemainder], v[\vDivisor], v[\vQuotient] // 
v_mul_hi_u32 v[\vTmp0], v[\vDivisor], v[\vQuotient] // 
_v_sub_co_u32 v[\vTmp1], vcc, 0x0, v[\vRemainder]  // 
v_cmp_ne_i32 s[\sTmp:\sTmp+1], 0x0, v[\vTmp0]      // 
v_cndmask_b32 v[\vRemainder], v[\vTmp1], v[\vRemainder], s[\sTmp:\sTmp+1] // 
v_mul_hi_u32 v[\vRemainder], v[\vRemainder], v[\vQuotient] // 
_v_sub_co_u32 v[\vTmp0], vcc, v[\vQuotient], v[\vRemainder] // 
_v_add_co_u32 v[\vQuotient], vcc, v[\vQuotient], v[\vRemainder] // 
v_cndmask_b32 v[\vQuotient], v[\vQuotient], v[\vTmp0], s[\sTmp:\sTmp+1] // 
v_mul_hi_u32 v[\vQuotient], v[\vQuotient], v[\vDividend] // 
v_mul_lo_u32 v[\vRemainder], v[\vQuotient], v[\vDivisor] // 
_v_sub_co_u32 v[\vTmp0], vcc, v[\vDividend], v[\vRemainder] // 
v_cmp_ge_u32 s[\sTmp:\sTmp+1], v[\vDividend], v[\vRemainder] // 
_v_add_co_u32 v[\vRemainder], vcc, 0x1, v[\vQuotient] // 
_v_add_co_u32 v[\vTmp1], vcc, -1, v[\vQuotient]    // 
v_cmp_le_u32 vcc, v[\vDivisor], v[\vTmp0]          // 
s_and_b64 vcc, s[\sTmp:\sTmp+1], vcc               // 
v_cndmask_b32 v[\vQuotient], v[\vQuotient], v[\vRemainder], vcc // 
v_cndmask_b32 v[\vQuotient], v[\vTmp1], v[\vQuotient], s[\sTmp:\sTmp+1] // 
v_cmp_ne_i32 vcc, 0x0, v[\vDivisor]                // 
v_cndmask_b32 v[\vQuotient], -1, v[\vQuotient], vcc // final result
v_mul_lo_u32 v[\vRemainder], v[\vQuotient], v[\vDivisor] // 
_v_sub_co_u32 v[\vRemainder], vcc, v[\vDividend], v[\vRemainder] // final result
.endm


	;; [unrolled: 1-line block ×3, first 2 shown]
/******************************************/
/* Allocate Resources                     */
/******************************************/

Cijk_Ailk_Bjlk_CB_MT256x64x8_MI32x32x2x1_SN_1LDSB1_APM1_ABV0_ACED0_AF0EM1_AF1EM1_AMAS3_ASE_ASGT_ASLT_ASEM1_AAC0_BL1_BS1_CLR0_DTVA1_DVO0_ETSP_EPS1_EMLL0_FL0_GLVWA2_GLVWB2_GRPM1_GRVW2_GSU1_GSUASB_GLS0_ISA90a_IU1_K1_KLA_LBSPPA0_LBSPPB0_LPA0_LPB0_LDL1_LRVW1_LWPMn1_LDW0_FMA_MIAV1_MO40_MMFGLC_NTA0_NTB0_NTC3_NTD3_NEPBS0_NLCA1_NLCB1_ONLL1_OPLV0_PK0_PAP0_PGR2_PLR5_SIA3_SS1_SU32_SUM0_SUS256_SCIUI1_SPO1_SRVW0_SSO4_SVW2_SNLL0_TSGRA0_TSGRB0_TT2_64_TLDS0_UMLDSA0_UMLDSB0_USFGROn1_VAW1_VSn1_VW2_VWB1_VFLRP0_WSGRA0_WSGRB0_WG128_2_1_WGM2_preloaded: // Kernel start when preloading
s_setprio 3                                        // optimization store

/* Load Kernel Args */
_s_load_b512 s[24:39], s[sgprKernArgAddress:sgprKernArgAddress+1], 0x0 // 
_s_load_b512 s[40:55], s[sgprKernArgAddress:sgprKernArgAddress+1], 0x40 // 
_s_load_b64 s[56:57], s[sgprKernArgAddress:sgprKernArgAddress+1], 0x80 // 
s_mov_b32 m0, 0x1000                               // LDS clamp at 4096 bytes
v_mov_b32 v[vgprSerial], v0                        // thread serial id

/******************************************/
/* Local Read Addresses                   */
/******************************************/


/* local read addresses: tile assignments a/b */

/*lr1J*/
v_and_b32 v1, 63, v[vgprSerial]                    // 0. thread id in wave: wtid = tid % wavelength(64)
v_and_b32 v0, 31, v1                               // 1. N offset: nIdx = wtid % MI_N(32)
                                                   // 1. N offset: nOffset = nIdx * nStride(1) (multiplier is 1, do nothing)
                                                   // 2. block offset: bnIdx = bnIdx % num1DBlocks(1) is 0. do nothing
                                                   // 4. apply VectorWidth: bnOffset = bnOffset * vw(1) (multiplier is 1, do nothing)
v_lshrrev_b32 v1, 5, v1                            // 5. K offset: kIdx = wtid / (MIN(32) * MIBB(1))
v_lshlrev_b32 v1, 0x6, v1                          // 5. K offset: lrKOffset = kIdx * mStride(64)
_v_add_u32 v0, v1, v0                              // 6. offset in wave: lrOffset = bnOffset + lrKOffset


/* local read addresses: final offsets a */


	;; [unrolled: 1-line block ×3, first 2 shown]
/* local read addresses: final offsets b */

v_lshlrev_b32 v[vgprLocalReadAddrB], 0x3, v0       // Final Offset: offset = (lro1)*bpe


/* local read addresses: declare addresses a */

/* N/A */


/* local read addresses: declare addresses b */


	;; [unrolled: 1-line block ×3, first 2 shown]
/* global read addresses: tile offset assignment a */

/* LVCA = 128 */
/* v0 = (local)groA-tile = serial%LVCA (note (wgA*MTA) will be added to SRD) */
/* v1 = groA-unroll = serial/LVCA */
v_and_b32 v1, 63, v[vgprSerial]                    // 0. thread id in wave: wtid = tid % wavelength(64)
v_and_b32 v0, 31, v1                               // 1. N offset: nIdx = wtid % MI_N(32)
                                                   // 1. N offset: nOffset = nIdx * nStride(1) (multiplier is 1, do nothing)
                                                   // 2. block offset: bnIdx = bnIdx % num1DBlocks(1) is 0. do nothing
                                                   // 4. apply VectorWidth: bnOffset = bnOffset * vw(1) (multiplier is 1, do nothing)
v_lshrrev_b32 v1, 5, v1                            // 5. K offset: kIdx = wtid / (MIN(32) * MIBB(1))
v_lshrrev_b32 v3, 6, v[vgprSerial]                 // v3 = v[vgprSerial] / 64
v_and_b32 v2, 3, v3                                // v2 = v3 % 4
v_lshlrev_b32 v2, 0x5, v2                          // v2 = v2 * 32
_v_add_u32 v0, v2, v0                              // 
                                                   // v1 = v1 * 1 (multiplier is 1, do nothing)
/* gro-tile *= glvw */
v_lshlrev_b32 v0, 0x1, v0                          // v0 = v0 * 2


/* global read addresses: tile offset assignment b */

/* LVCB = 32 */
/* v2 = (local)groB-tile = serial%LVCB (note (wgB*MTB) will be added to SRD) */
/* v3 = groB-unroll = serial/LVCB */
v_lshrrev_b32 v3, 5, v[vgprSerial]                 // v3 = v[vgprSerial] / 32
v_and_b32 v2, 31, v[vgprSerial]                    // v2 = v[vgprSerial] % 32
/* gro-tile *= glvw */
v_lshlrev_b32 v2, 0x1, v2                          // v2 = v2 * 2


/******************************************/
/* Local Write Addresses                  */
/******************************************/

/* lwaTileAssignmentA = v0 */

/* lwaTileAssignmentB = v2 */

/* lwaUnrollAssignmentA = v1 */

/* lwaUnrollAssignmentB = v3 */


/* local write addresses: first offset a */


	;; [unrolled: 1-line block ×3, first 2 shown]
/* local write addresses: first offset b */

v_mul_u32_u24 v[vgprLocalWriteAddrB], 0x40, v3     // lwBL**(MTB + PAD)
_v_add_lshl_u32 v[vgprLocalWriteAddrB], v2, v[vgprLocalWriteAddrB], 0x3 // lwFOB = (lwBB + lwBL*(MT1J+PAD))*bpe


	;; [unrolled: 1-line block ×7, first 2 shown]
s_waitcnt lgkmcnt(0)                               // wait for 136 bytes of kern args
s_mov_b64 s[sgprSrdC+0:sgprSrdC+0+1], s[sgprAddressC+0:sgprAddressC+0+1] // copy addressC
s_mov_b64 s[sgprSrdD+0:sgprSrdD+0+1], s[sgprAddressD+0:sgprAddressD+0+1] // copy addressD
s_sub_u32 s[sgprSrdA+0], s[sgprAddressA+0], 16     // pre-pad to make room for possible pointer shift
s_subb_u32 s[sgprSrdA+1], s[sgprAddressA+1], 0     // pre-pad to make room for possible pointer shift
s_sub_u32 s[sgprSrdB+0], s[sgprAddressB+0], 16     // pre-pad to make room for possible pointer shift
s_subb_u32 s[sgprSrdB+1], s[sgprAddressB+1], 0     // pre-pad to make room for possible pointer shift

.set AddressD, UNDEF
.set AddressC, UNDEF
.set AddressA, UNDEF
.set AddressB, UNDEF

/* Short circuit condition if Alpha == 0, then sumDims=0 */
v_cmp_eq_f32 vcc, s[sgprAlpha], 0.0                // Alpha.real == 0.0f ?
s_cbranch_vccz label_AlphaNonZero                  // branch if Alpha.real != 0
v_cmp_eq_f32 vcc, s[sgprAlpha+1], 0.0              // Alpha.imag == 0.0f ?
s_cbranch_vccz label_AlphaNonZero                  // branch if Alpha.imag != 0
s_mov_b32 s[sgprSizesSum+0], 0x0                   // Set summation dim=0 if Alpha == 0
label_AlphaNonZero:


	;; [unrolled: 1-line block ×3, first 2 shown]
/******************************************/
/* Begin setupNewTile, isPap=False           */
/******************************************/


/* global read addresses: work-group */

/* graWorkGroup mapping */
s_mov_b32 s63, 0x40000001L                         // magic number for WGM==2
s_mul_hi_u32 s61, s[sgprWorkGroup1], s63           // s_magic mul
s_mul_i32 s60, s[sgprWorkGroup1], s63              // s_magic mul
s_lshr_b64 s[60:61], s[60:61], 31                  // sMagicDiv
s_mul_i32 s61, s60, 2                              // quotient * non-magic divisor
s_sub_u32 s61, s[sgprWorkGroup1], s61              // WorkGroup1=remainder
s_mul_i32 s61, s61, s[sgprNumWorkGroups0]          // (wg1 % WGM)*nwg0
s_add_u32 s61, s61, s[sgprWorkGroup0]              // wgSerial = wg0 + (wg1 % WGM)*nwg1
s_cmp_ge_u32 s60, s[sgprNumFullBlocks]             // blockId >= numFullBlocks ?
s_cmov_b32 s63, s[sgprMagicNumberWgmRemainder1]    // 
s_cselect_b32 s62, s[sgprWgmRemainder1], 2         // 
s_mul_hi_u32 s3, s61, s63                          // s_magic mul
s_mul_i32 s2, s61, s63                             // s_magic mul
s_lshr_b64 s[2:3], s[2:3], 31                      // sMagicDiv
s_mul_i32 s[sgprWorkGroup1], s[sgprWorkGroup0], s62 // quotient * non-magic divisor
s_sub_u32 s[sgprWorkGroup1], s61, s[sgprWorkGroup1] // WorkGroup1=remainder
s_mul_i32 s60, s60, 2                              // blockId * WGM
s_add_u32 s[sgprWorkGroup1], s[sgprWorkGroup1], s60 // wg1 += blockId * WGM


/* global read addresses: unroll assignment a */

/* v1 */


/* global read addresses: unroll assignment b */

/* v3 */


/* global read addresses: other free assignments */

/* s[sgprWorkGroup2] */


/* global read addresses: tile offsets a */

v_mov_b32 v4, v0                                   // groA0I_0


/* global read addresses: tile offsets b */

v_mov_b32 v5, v2                                   // groB1J_0


/* global read addresses: unroll offsets a */

v_mov_b32 v6, v1                                   // groAL_0
_v_add_co_u32 v7, vcc, 2, v6                       // groAL_1 + LSPA
_v_add_co_u32 v8, vcc, 2, v7                       // groAL_2 + LSPA
_v_add_co_u32 v9, vcc, 2, v8                       // groAL_3 + LSPA


/* global read addresses: unroll offsets b */

v_mov_b32 v10, v3                                  // groBL_0


/* global read addresses: shift a */

s_mul_i32 s60, s[sgprWorkGroup0], 256              // WorkGroup[01] * MT
s_sub_u32 s60, s[sgprSizeI], s60                   // edge = Size0I - WG*MT
s_sub_u32 s60, s60, 2                              // edge -= margin(2)
v_mov_b32 v11, s60                                 // edge vgpr = Size0I- WG*MT - margin(2)
v_min_i32 v4, v11, v4                              // offset = (offset < edge) ? offset(v4) : edge(v11)


/* global read addresses: shift b */

s_mul_i32 s60, s[sgprWorkGroup1], 64               // WorkGroup[01] * MT
s_sub_u32 s60, s[sgprSizeJ], s60                   // edge = Size1J - WG*MT
s_sub_u32 s60, s60, 2                              // edge -= margin(2)
v_mov_b32 v11, s60                                 // edge vgpr = Size1J- WG*MT - margin(2)
v_min_i32 v5, v11, v5                              // offset = (offset < edge) ? offset(v5) : edge(v11)


/* global read addresses: final offsets a */

GLOBAL_OFFSET_A vgprGlobalReadOffsetA+0,  4,  6, 11 // gROA_0_0_0_0
GLOBAL_OFFSET_A vgprGlobalReadOffsetA+1,  4,  7, 11 // gROA_0_0_1_0
GLOBAL_OFFSET_A vgprGlobalReadOffsetA+2,  4,  8, 11 // gROA_0_0_2_0
GLOBAL_OFFSET_A vgprGlobalReadOffsetA+3,  4,  9, 11 // gROA_0_0_3_0


/* global read addresses: final offsets b */

GLOBAL_OFFSET_B vgprGlobalReadOffsetB+0,  5, 10, 6 // gROB_0_0_0_0


/* global read addresses: addresses a */

/* max read offset = size[n] * stride[n-1] */
s_mul_hi_u32 s63, s[sgprWorkGroup0], 256           // WorkGroup[01] * MT
s_mul_i32 s62, s[sgprWorkGroup0], 256              // WorkGroup[01] * MT
s_sub_u32 s[sgprShadowLimitA+0], s[sgprTensor2dSizeA], s62 // sub tileStart
s_subb_u32 s[sgprShadowLimitA+1], s[sgprTensor2dSizeA+1], s63 // sub tileStart
s_lshl_b64 s[sgprShadowLimitA:sgprShadowLimitA+1], s[sgprShadowLimitA:sgprShadowLimitA+1], 0x3 // Set limit to use bytes
s_add_u32 s[sgprShadowLimitA+0], s[sgprShadowLimitA+0], 16 // extend limit for pre-pad
s_addc_u32 s[sgprShadowLimitA+1], s[sgprShadowLimitA+1], 0 // extend limit for pre-pad
s_cmp_eq_u32 s[sgprShadowLimitA+1], 0              // are we within 2^32?
s_cselect_b32 s[sgprSrdA+2], s[sgprShadowLimitA+0], BufferLimitA // Move shadow to real if we are within 2^32
s_mul_hi_u32 s61, s[sgprStrideAK], s[sgprWorkGroup2] // Stride*WG
s_mul_i32 s60, s[sgprStrideAK], s[sgprWorkGroup2]  // Stride*WG
s_add_u32 s62, s62, s60                            // accum wg term to tilestart
s_addc_u32 s63, s63, s61                           // accum wg term to tilestart
s_lshl_b64 s[62:63], s[62:63], 0x3                 // tileStart *= BPE
s_add_u32 s[sgprSrdA+0], s[sgprSrdA+0], s62        // SRD base = Address+ tileStart0
s_addc_u32 s[sgprSrdA+1], s[sgprSrdA+1], s63       // SRD base = Address+ tileStart1
s_mov_b32 s[sgprSrdA+3], Srd127_96                 // Set bits 127_96 in SRD


/* global read addresses: addresses b */

/* max read offset = size[n] * stride[n-1] */
s_mul_hi_u32 s63, s[sgprWorkGroup1], 64            // WorkGroup[01] * MT
s_mul_i32 s62, s[sgprWorkGroup1], 64               // WorkGroup[01] * MT
s_sub_u32 s[sgprShadowLimitB+0], s[sgprTensor2dSizeB], s62 // sub tileStart
s_subb_u32 s[sgprShadowLimitB+1], s[sgprTensor2dSizeB+1], s63 // sub tileStart
s_lshl_b64 s[sgprShadowLimitB:sgprShadowLimitB+1], s[sgprShadowLimitB:sgprShadowLimitB+1], 0x3 // Set limit to use bytes
s_add_u32 s[sgprShadowLimitB+0], s[sgprShadowLimitB+0], 16 // extend limit for pre-pad
s_addc_u32 s[sgprShadowLimitB+1], s[sgprShadowLimitB+1], 0 // extend limit for pre-pad
s_cmp_eq_u32 s[sgprShadowLimitB+1], 0              // are we within 2^32?
s_cselect_b32 s[sgprSrdB+2], s[sgprShadowLimitB+0], BufferLimitB // Move shadow to real if we are within 2^32
s_mul_hi_u32 s61, s[sgprStrideBK], s[sgprWorkGroup2] // Stride*WG
s_mul_i32 s60, s[sgprStrideBK], s[sgprWorkGroup2]  // Stride*WG
s_add_u32 s62, s62, s60                            // accum wg term to tilestart
s_addc_u32 s63, s63, s61                           // accum wg term to tilestart
s_lshl_b64 s[62:63], s[62:63], 0x3                 // tileStart *= BPE
s_add_u32 s[sgprSrdB+0], s[sgprSrdB+0], s62        // SRD base = Address+ tileStart0
s_addc_u32 s[sgprSrdB+1], s[sgprSrdB+1], s63       // SRD base = Address+ tileStart1
s_mov_b32 s[sgprSrdB+3], Srd127_96                 // Set bits 127_96 in SRD


/* global read addresses: increments a */

s_mul_i32 s[sgprGlobalReadIncsA+0], DepthU*BpeA, s[sgprStrideAL] // incrA unrollIdx)


/* global read addresses: increments b */

s_mul_i32 s[sgprGlobalReadIncsB+0], DepthU*BpeB, s[sgprStrideBL] // incrB unrollIdx)

/* declare loop num iterations */


s_lshr_b32 s[sgprLoopCounterL], s[sgprSizesSum+0], 3 // s[sgprLoopCounterL] = s[sgprSizesSum+0] / 8
s_mov_b32 s[sgprOrigLoopCounter], s[sgprLoopCounterL] // copy loop counter

s_and_b32 s[sgprStaggerUIter], s[sgprOrigStaggerUIter], s[sgprWorkGroup0] // Compute actual stagger start for this tile
s_lshl_b32 s[sgprStaggerUIter], s[sgprStaggerUIter], 2 // shift by StaggerUStride


/* SRDs += (StaggerUIter) * GlobalReadIncsA+0 */
s_mul_hi_u32 s61, s[sgprStaggerUIter], s[sgprGlobalReadIncsA+0] //  stagger byte offset
s_mul_i32 s60, s[sgprStaggerUIter], s[sgprGlobalReadIncsA+0] //  stagger byte offset
s_mul_hi_u32 s[sgprWrapUA+1], s[sgprLoopCounterL], s[sgprGlobalReadIncsA+0] // Number of bytes accessed by the unroll loop
s_mul_i32 s[sgprWrapUA+0], s[sgprLoopCounterL], s[sgprGlobalReadIncsA+0] // Number of bytes accessed by the unroll loop
s_sub_u32 s[sgprWrapUA+0], s[sgprGlobalReadIncsA+0], s[sgprWrapUA+0] // remove one iteration
s_subb_u32 s[sgprWrapUA+1], 0, s[sgprWrapUA+1]     // remove one iteration
s_add_u32 s[sgprSrdA+0], s[sgprSrdA+0], s60        // gra SRD += inc(lower)
s_addc_u32  s[sgprSrdA+1], s[sgprSrdA+1], s61      // gra SRD += inc(upper)
s_sub_u32 s[sgprShadowLimitA+0], s[sgprShadowLimitA+0], s60 // limit -= inc)
s_subb_u32 s[sgprShadowLimitA+1], s[sgprShadowLimitA+1], s61 // limit -= inc)
s_cmp_eq_u32 s[sgprShadowLimitA+1], 0              // are we within 2^32?
s_cselect_b32 s[sgprSrdA+2], s[sgprShadowLimitA+0], BufferLimitA // Move shadow to real if we are within 2^32


/* SRDs += (StaggerUIter) * GlobalReadIncsB+0 */
s_mul_hi_u32 s61, s[sgprStaggerUIter], s[sgprGlobalReadIncsB+0] //  stagger byte offset
s_mul_i32 s60, s[sgprStaggerUIter], s[sgprGlobalReadIncsB+0] //  stagger byte offset
s_mul_hi_u32 s[sgprWrapUB+1], s[sgprLoopCounterL], s[sgprGlobalReadIncsB+0] // Number of bytes accessed by the unroll loop
s_mul_i32 s[sgprWrapUB+0], s[sgprLoopCounterL], s[sgprGlobalReadIncsB+0] // Number of bytes accessed by the unroll loop
s_sub_u32 s[sgprWrapUB+0], s[sgprGlobalReadIncsB+0], s[sgprWrapUB+0] // remove one iteration
s_subb_u32 s[sgprWrapUB+1], 0, s[sgprWrapUB+1]     // remove one iteration
s_add_u32 s[sgprSrdB+0], s[sgprSrdB+0], s60        // gra SRD += inc(lower)
s_addc_u32  s[sgprSrdB+1], s[sgprSrdB+1], s61      // gra SRD += inc(upper)
s_sub_u32 s[sgprShadowLimitB+0], s[sgprShadowLimitB+0], s60 // limit -= inc)
s_subb_u32 s[sgprShadowLimitB+1], s[sgprShadowLimitB+1], s61 // limit -= inc)
s_cmp_eq_u32 s[sgprShadowLimitB+1], 0              // are we within 2^32?
s_cselect_b32 s[sgprSrdB+2], s[sgprShadowLimitB+0], BufferLimitB // Move shadow to real if we are within 2^32
s_add_u32 s[sgprStaggerUIter], s[sgprStaggerUIter], 2 // Subtract (PGR-1); StaggerUIter now contains target iteration to wrap

/* local read addresses: init pointers a */


/* local read addresses: init pointers b */


/* localReadInitPointers */


/* prefetch: global -> local */

s_cmp_eq_u32 s[sgprLoopCounterL], 0                // at last iteration?
s_setprio 0                                        // optimization store
s_cbranch_scc1 ShadowInitStart_10                  // skip to ShadowInitStart iter b/c numIter==0


_buffer_load_b128 v[vgprG2LB+0:vgprG2LB+0+3], v[vgprGlobalReadOffsetB+0], s[sgprSrdB:sgprSrdB+3], 0, offen offset:0 // G -> Reg 0_0_0_0


_buffer_load_b128 v[vgprG2LA0+0:vgprG2LA0+0+3], v[vgprGlobalReadOffsetA+0], s[sgprSrdA:sgprSrdA+3], 0, offen offset:0 // G -> Reg 0_0_0_0
_buffer_load_b128 v[vgprG2LA0+4:vgprG2LA0+4+3], v[vgprGlobalReadOffsetA+1], s[sgprSrdA:sgprSrdA+3], 0, offen offset:0 // G -> Reg 0_0_1_0
_buffer_load_b128 v[vgprG2LA0+8:vgprG2LA0+8+3], v[vgprGlobalReadOffsetA+2], s[sgprSrdA:sgprSrdA+3], 0, offen offset:0 // G -> Reg 0_0_2_0
_buffer_load_b128 v[vgprG2LA0+12:vgprG2LA0+12+3], v[vgprGlobalReadOffsetA+3], s[sgprSrdA:sgprSrdA+3], 0, offen offset:0 // G -> Reg 0_0_3_0


/* global read inc A loopL */
s_add_u32 s62, s[sgprLoopCounterL], 1              // remove pf(1)
s_cmp_eq_u32 s[sgprStaggerUIter], s62              // Is this wrapIter? (pf)
s_cselect_b32 s60, s[sgprWrapUA+0], s[sgprGlobalReadIncsA+0] // incLower <- ?
s_cselect_b32 s61, s[sgprWrapUA+1], 0              // incUpper <- ?
s_add_u32 s[sgprSrdA+0], s[sgprSrdA+0], s60        // gra SRD += inc(lower)
s_addc_u32  s[sgprSrdA+1], s[sgprSrdA+1], s61      // gra SRD += inc(upper)
s_sub_u32 s[sgprShadowLimitA+0], s[sgprShadowLimitA+0], s60 // limit -= inc)
s_subb_u32 s[sgprShadowLimitA+1], s[sgprShadowLimitA+1], s61 // limit -= inc)
s_cmp_eq_u32 s[sgprShadowLimitA+1], 0              // are we within 2^32?
s_cselect_b32 s[sgprSrdA+2], s[sgprShadowLimitA+0], BufferLimitA // Move shadow to real if we are within 2^32

/* global read inc B loopL */
s_add_u32 s62, s[sgprLoopCounterL], 1              // remove pf(1)
s_cmp_eq_u32 s[sgprStaggerUIter], s62              // Is this wrapIter? (pf)
s_cselect_b32 s60, s[sgprWrapUB+0], s[sgprGlobalReadIncsB+0] // incLower <- ?
s_cselect_b32 s61, s[sgprWrapUB+1], 0              // incUpper <- ?
s_add_u32 s[sgprSrdB+0], s[sgprSrdB+0], s60        // gra SRD += inc(lower)
s_addc_u32  s[sgprSrdB+1], s[sgprSrdB+1], s61      // gra SRD += inc(upper)
s_sub_u32 s[sgprShadowLimitB+0], s[sgprShadowLimitB+0], s60 // limit -= inc)
s_subb_u32 s[sgprShadowLimitB+1], s[sgprShadowLimitB+1], s61 // limit -= inc)
s_cmp_eq_u32 s[sgprShadowLimitB+1], 0              // are we within 2^32?
s_cselect_b32 s[sgprSrdB+2], s[sgprShadowLimitB+0], BufferLimitB // Move shadow to real if we are within 2^32


/******************************************/
/* End setupNewTile, isPap=False             */
/******************************************/

ShadowInitStart_10: // 

s_mov_b32 s[sgprSrdD+2], BufferOOB                 // 
s_mov_b32 s[sgprSrdD+3], Srd127_96                 // Set bits 127_96 in post-loop SRD

s_mov_b32 s[sgprSrdC+2], BufferOOB                 // 
s_mov_b32 s[sgprSrdC+3], Srd127_96                 // Set bits 127_96 in post-loop SRD


s_mul_i32 s60, MT1, s[sgprWorkGroup1]              // <- wg1*MT1
s_mul_hi_u32 s59, s60, s[sgprStrideC1J]            // CScale s60 by Stride
s_mul_i32 s58, s60, s[sgprStrideC1J]               // CScale s60 by Stride
s_lshl_b64 s[58:59], s[58:59], 3                   // scale by bpe
s_add_u32 s[sgprSrdC+0], s[sgprSrdC+0], s58        // add lo to SRD
s_addc_u32 s[sgprSrdC+1], s[sgprSrdC+1], s59       // add hi to SRD
s_mul_hi_u32 s59, s60, s[sgprStrideD1J]            // Scale s60 by Stride
s_mul_i32 s58, s60, s[sgprStrideD1J]               // Scale s60 by Stride
s_lshl_b64 s[58:59], s[58:59], 3                   // scale by bpe
s_add_u32 s[sgprSrdD+0], s[sgprSrdD+0], s58        // add lo to SRD
s_addc_u32 s[sgprSrdD+1], s[sgprSrdD+1], s59       // add hi to SRD

s_mul_hi_u32 s59, s[sgprWorkGroup2], s[sgprStrideCK] // CScale s[sgprWorkGroup2] by Stride
s_mul_i32 s58, s[sgprWorkGroup2], s[sgprStrideCK]  // CScale s[sgprWorkGroup2] by Stride
s_lshl_b64 s[58:59], s[58:59], 3                   // scale by bpe
s_add_u32 s[sgprSrdC+0], s[sgprSrdC+0], s58        // add lo to SRD
s_addc_u32 s[sgprSrdC+1], s[sgprSrdC+1], s59       // add hi to SRD
s_mul_hi_u32 s59, s[sgprWorkGroup2], s[sgprStrideDK] // Scale s[sgprWorkGroup2] by Stride
s_mul_i32 s58, s[sgprWorkGroup2], s[sgprStrideDK]  // Scale s[sgprWorkGroup2] by Stride
s_lshl_b64 s[58:59], s[58:59], 3                   // scale by bpe
s_add_u32 s[sgprSrdD+0], s[sgprSrdD+0], s58        // add lo to SRD
s_addc_u32 s[sgprSrdD+1], s[sgprSrdD+1], s59       // add hi to SRD


	;; [unrolled: 1-line block ×3, first 2 shown]
/* initC: remove C-tile 0-128 from pool */

/* initC: remove AB-tile 128-144 from pool */
v_mov_b32 v[vgprValuC+0], 0x0                      // initC
v_mov_b32 v[vgprValuC+1], 0x0                      // initC
	;; [unrolled: 1-line block ×10, first 2 shown]
v_mov_b32 v[vgprValuC+10], 0x0                     // initC
v_mov_b32 v[vgprValuC+11], 0x0                     // initC
	;; [unrolled: 1-line block ×90, first 2 shown]
v_mov_b32 v[vgprValuC+100], 0x0                    // initC
v_mov_b32 v[vgprValuC+101], 0x0                    // initC
	;; [unrolled: 1-line block ×28, first 2 shown]

s_cmp_eq_u32 s[sgprLoopCounterL], 0                // at last iteration?

/* after InitC, skip to end of prefetch last iter if numIter==0 */
s_cbranch_scc0 label_NoBranch_11                   // Only branch on scc1
s_getpc_B64 s[58:59]                               // addr of next instr
s_add_i32 s60, PrefetchGlobalLastIterEnd_5, 0x4    // target branch offset
s_add_u32 s58, s58, s60                            // add target branch offset
s_addc_u32 s59, s59, 0                             // add high and carry
s_setpc_b64 s[58:59]                               // branch to PrefetchGlobalLastIterEnd_5
label_NoBranch_11:

s_waitcnt vmcnt(4)                                 // lgkmcnt=-1 vmcnt=4 8wait for global read


/* local write a */

/* local write b */
_ds_store_b128 v[vgprLocalWriteAddrB], v[vgprG2LB+0:vgprG2LB+0+3] offset:0 // lwoB_0_0_0_0 = (0*LSCB) + (0*LSPB)(*MT1J+PAD) = 0


/* local write swap a */


	;; [unrolled: 1-line block ×3, first 2 shown]
/* local write swap b */


	;; [unrolled: 1-line block ×4, first 2 shown]
s_cmp_eq_u32 s[sgprLoopCounterL] 0x1               // PGR=2 but only 1 loop
s_cbranch_scc1 label_0012                          // PGR=2 but only 1 loop


_buffer_load_b128 v[vgprG2LB+0:vgprG2LB+0+3], v[vgprGlobalReadOffsetB+0], s[sgprSrdB:sgprSrdB+3], 0, offen offset:0 // G -> Reg 0_0_0_0


_buffer_load_b128 v[vgprG2LA1+0:vgprG2LA1+0+3], v[vgprGlobalReadOffsetA+0], s[sgprSrdA:sgprSrdA+3], 0, offen offset:0 // G -> Reg 0_0_0_0
_buffer_load_b128 v[vgprG2LA1+4:vgprG2LA1+4+3], v[vgprGlobalReadOffsetA+1], s[sgprSrdA:sgprSrdA+3], 0, offen offset:0 // G -> Reg 0_0_1_0
_buffer_load_b128 v[vgprG2LA1+8:vgprG2LA1+8+3], v[vgprGlobalReadOffsetA+2], s[sgprSrdA:sgprSrdA+3], 0, offen offset:0 // G -> Reg 0_0_2_0
_buffer_load_b128 v[vgprG2LA1+12:vgprG2LA1+12+3], v[vgprGlobalReadOffsetA+3], s[sgprSrdA:sgprSrdA+3], 0, offen offset:0 // G -> Reg 0_0_3_0

label_0012:                                        // 

s_waitcnt lgkmcnt(0)                               // lgkmcnt=0 vmcnt=-10prefetch wait for local write

// Skip force waitcnt0
s_barrier //


/* local read prefetch a */


	;; [unrolled: 1-line block ×3, first 2 shown]
/* local read prefetch b */

_ds_load_b64 v[vgprValuB_X0_I0+0:vgprValuB_X0_I0+0+1], v[vgprLocalReadAddrB] offset:0 // L -> Reg lro=0 swapByteOffset=0 ti=32 vIdx=0 rIdx=0 oIdx=0 buffer=0 iui=0
_ds_load_b64 v[vgprValuB_X0_I0+2:vgprValuB_X0_I0+2+1], v[vgprLocalReadAddrB] offset:256 // L -> Reg lro=0 swapByteOffset=0 ti=32 vIdx=1 rIdx=0 oIdx=0 buffer=0 iui=0


/* local read inc a */


	;; [unrolled: 1-line block ×3, first 2 shown]
/* local read inc b */

/* N/A, lro->128 */
/* self.localReadDoCntA 1 self.localReadDoCntB 1 */


	;; [unrolled: 1-line block ×3, first 2 shown]
/******************************************/
/* Unrolled Loop(s) - Begin               */
/******************************************/

openLoopL_13:
s_cmp_eq_u32 s[sgprLoopCounterL], 0x1              // LoopCounterL < EndCounter
s_cbranch_scc1 label_0014                          // PGR=2 but only 1 loop, toPGR1
s_cmp_le_u32 s[sgprLoopCounterL], 0x2              // LoopCounterL < EndCounter
s_cbranch_scc1 LoopEndL_evenexit_4                 // do not enter LoopL
LoopBeginL_1:


/******************************************/
/* Unrolled Loop 1/2 - Begin              */
/******************************************/

label_0015: // LoopCopy1 


/* Begin Each Unroll: Check VGPR.checkin for INT8 LW */


	;; [unrolled: 1-line block ×3, first 2 shown]
/* iter 0 */

s_waitcnt vmcnt(8)                                 // lgkmcnt=-1 vmcnt=8global read wait for DirectToVgpr

/*  grEndMfmaIndex:3, lwStartMfmaIndex:46, lwEndMfmaIndex:47  */
/*  numMfmaForLR:1, barrierMfmaIndex:62, LocalWritePerMfma:0.165 */
/*  mfmaIndex:0  */
s_waitcnt lgkmcnt(0)                               // lgkmcnt=0 vmcnt=-1wait for prior local read local write old=0, new=0 newLW=0 newLR=0
v_add_f32 v188, -v[vgprG2LA+0+0+1], 0              // Ai=-Ai
v_mfma_f32_32x32x2f32 v[0+0:15+0], v[vgprValuB_X0_I0+0+0+0], v[vgprG2LA+0+0], v[0:15]
 // Cr += Ar*Br
/*  mfmaIndex:1  */
_ds_load_b64 v[vgprValuB_X1_I0+0:vgprValuB_X1_I0+0+1], v[vgprLocalReadAddrB] offset:1024 // L -> Reg lro=128 swapByteOffset=0 ti=32 vIdx=0 rIdx=0 oIdx=0 buffer=1 iui=0
_ds_load_b64 v[vgprValuB_X1_I0+2:vgprValuB_X1_I0+2+1], v[vgprLocalReadAddrB] offset:1280 // L -> Reg lro=128 swapByteOffset=0 ti=32 vIdx=1 rIdx=0 oIdx=0 buffer=1 iui=0
/* localReadsVacancy: latencyLeft 9 */
_ds_load_b64 v[vgprValuB_X2_I0+0:vgprValuB_X2_I0+0+1], v[vgprLocalReadAddrB] offset:2048 // L -> Reg lro=256 swapByteOffset=0 ti=32 vIdx=0 rIdx=0 oIdx=0 buffer=2 iui=0
_ds_load_b64 v[vgprValuB_X2_I0+2:vgprValuB_X2_I0+2+1], v[vgprLocalReadAddrB] offset:2304 // L -> Reg lro=256 swapByteOffset=0 ti=32 vIdx=1 rIdx=0 oIdx=0 buffer=2 iui=0
_ds_load_b64 v[vgprValuB_X3_I0+0:vgprValuB_X3_I0+0+1], v[vgprLocalReadAddrB] offset:3072 // L -> Reg lro=384 swapByteOffset=0 ti=32 vIdx=0 rIdx=0 oIdx=0 buffer=3 iui=0
_ds_load_b64 v[vgprValuB_X3_I0+2:vgprValuB_X3_I0+2+1], v[vgprLocalReadAddrB] offset:3328 // L -> Reg lro=384 swapByteOffset=0 ti=32 vIdx=1 rIdx=0 oIdx=0 buffer=3 iui=0

/* global read inc B loopL */
s_cmp_eq_u32 s[sgprLoopCounterL], s[sgprStaggerUIter] // Is this the wrapIter?
s_cselect_b32 s58, s[sgprWrapUB+0], s[sgprGlobalReadIncsB+0] // incLower <- ?
s_cselect_b32 s59, s[sgprWrapUB+1], 0              // incUpper <- ?
s_add_u32 s[sgprSrdB+0], s[sgprSrdB+0], s58        // gra SRD += inc(lower)
s_addc_u32  s[sgprSrdB+1], s[sgprSrdB+1], s59      // gra SRD += inc(upper)
s_sub_u32 s[sgprShadowLimitB+0], s[sgprShadowLimitB+0], s58 // limit -= inc)
s_subb_u32 s[sgprShadowLimitB+1], s[sgprShadowLimitB+1], s59 // limit -= inc)
v_mfma_f32_32x32x2f32 v[64+0:79+0], v[vgprValuB_X0_I0+0+0+0], v[vgprG2LA+0+0+1], v[64:79]
 // Ci += Ai*Br
/*  mfmaIndex:2  */
/* localReadsVacancy: latencyLeft 13 */
s_cmp_eq_u32 s[sgprShadowLimitB+1], 0              // are we within 2^32?
s_cselect_b32 s[sgprSrdB+2], s[sgprShadowLimitB+0], BufferLimitB // Move shadow to real if we are within 2^32

/* global read inc A loopL */
s_cmp_eq_u32 s[sgprLoopCounterL], s[sgprStaggerUIter] // Is this the wrapIter?
s_cselect_b32 s58, s[sgprWrapUA+0], s[sgprGlobalReadIncsA+0] // incLower <- ?
s_cselect_b32 s59, s[sgprWrapUA+1], 0              // incUpper <- ?
s_add_u32 s[sgprSrdA+0], s[sgprSrdA+0], s58        // gra SRD += inc(lower)
s_addc_u32  s[sgprSrdA+1], s[sgprSrdA+1], s59      // gra SRD += inc(upper)
v_mfma_f32_32x32x2f32 v[0+0:15+0], v[vgprValuB_X0_I0+0+0+0+1], v188, v[0:15]
 // Cr += -Ai*Bi
/*  mfmaIndex:3  */
/* localReadsVacancy: latencyLeft 13 */
s_sub_u32 s[sgprShadowLimitA+0], s[sgprShadowLimitA+0], s58 // limit -= inc)
s_subb_u32 s[sgprShadowLimitA+1], s[sgprShadowLimitA+1], s59 // limit -= inc)
s_cmp_eq_u32 s[sgprShadowLimitA+1], 0              // are we within 2^32?
s_cselect_b32 s[sgprSrdA+2], s[sgprShadowLimitA+0], BufferLimitA // Move shadow to real if we are within 2^32
v_mfma_f32_32x32x2f32 v[64+0:79+0], v[vgprValuB_X0_I0+0+0+0+1], v[vgprG2LA+0+0], v[64:79]
 // Ci += Ar*Bi
/*  mfmaIndex:4  */
/* localReadsVacancy: latencyLeft 13 */
v_mfma_f32_32x32x2f32 v[32+0:47+0], v[vgprValuB_X0_I0+2+0+0], v[vgprG2LA+0+0], v[32:47]
 // Cr += Ar*Br
/*  mfmaIndex:5  */
/* localReadsVacancy: latencyLeft 13 */
v_mfma_f32_32x32x2f32 v[96+0:111+0], v[vgprValuB_X0_I0+2+0+0], v[vgprG2LA+0+0+1], v[96:111]
 // Ci += Ai*Br
/*  mfmaIndex:6  */
/* localReadsVacancy: latencyLeft 13 */
v_mfma_f32_32x32x2f32 v[32+0:47+0], v[vgprValuB_X0_I0+2+0+0+1], v188, v[32:47]
 // Cr += -Ai*Bi
/*  mfmaIndex:7  */
/* localReadsVacancy: latencyLeft 13 */
v_mfma_f32_32x32x2f32 v[96+0:111+0], v[vgprValuB_X0_I0+2+0+0+1], v[vgprG2LA+0+0], v[96:111]
 // Ci += Ar*Bi
/*  mfmaIndex:8  */
/* localReadsVacancy: latencyLeft 13 */
v_add_f32 v188, -v[vgprG2LA+2+0+1], 0              // Ai=-Ai
v_mfma_f32_32x32x2f32 v[16+0:31+0], v[vgprValuB_X0_I0+0+0+0], v[vgprG2LA+2+0], v[16:31]
 // Cr += Ar*Br
/*  mfmaIndex:9  */
/* localReadsVacancy: latencyLeft 13 */
v_mfma_f32_32x32x2f32 v[80+0:95+0], v[vgprValuB_X0_I0+0+0+0], v[vgprG2LA+2+0+1], v[80:95]
 // Ci += Ai*Br
/*  mfmaIndex:10  */
/* localReadsVacancy: latencyLeft 13 */
v_mfma_f32_32x32x2f32 v[16+0:31+0], v[vgprValuB_X0_I0+0+0+0+1], v188, v[16:31]
 // Cr += -Ai*Bi
/*  mfmaIndex:11  */
/* localReadsVacancy: latencyLeft 13 */
v_mfma_f32_32x32x2f32 v[80+0:95+0], v[vgprValuB_X0_I0+0+0+0+1], v[vgprG2LA+2+0], v[80:95]
 // Ci += Ar*Bi
/*  mfmaIndex:12  */
/* localReadsVacancy: latencyLeft 13 */
v_mfma_f32_32x32x2f32 v[48+0:63+0], v[vgprValuB_X0_I0+2+0+0], v[vgprG2LA+2+0], v[48:63]
 // Cr += Ar*Br
/*  mfmaIndex:13  */
/* localReadsVacancy: latencyLeft 13 */
v_mfma_f32_32x32x2f32 v[112+0:127+0], v[vgprValuB_X0_I0+2+0+0], v[vgprG2LA+2+0+1], v[112:127]
 // Ci += Ai*Br
/*  mfmaIndex:14  */
/* localReadsVacancy: latencyLeft 13 */
v_mfma_f32_32x32x2f32 v[48+0:63+0], v[vgprValuB_X0_I0+2+0+0+1], v188, v[48:63]
 // Cr += -Ai*Bi
/*  mfmaIndex:15  */
/* localReadsVacancy: latencyLeft 13 */
v_mfma_f32_32x32x2f32 v[112+0:127+0], v[vgprValuB_X0_I0+2+0+0+1], v[vgprG2LA+2+0], v[112:127]
 // Ci += Ar*Bi
/* numPrefetchIter=0 */
/* dataAtIterA=-1 numReadsIterA=1 skipReadsIterA=1 readsPerIterA=1 */
/* dataAtIterB=-1 numReadsIterB=1 skipReadsIterB=1 readsPerIterB=2 */


/* iter 1 */

s_waitcnt vmcnt(7)                                 // lgkmcnt=-1 vmcnt=7global read wait for DirectToVgpr

/*  grEndMfmaIndex:3, lwStartMfmaIndex:46, lwEndMfmaIndex:47  */
/*  numMfmaForLR:1, barrierMfmaIndex:62, LocalWritePerMfma:0.165 */
/*  mfmaIndex:16  */
/* localReadsVacancy: latencyLeft 13 */
s_waitcnt lgkmcnt(4)                               // lgkmcnt=0 vmcnt=-1wait for prior local read local write old=2, new=2 newLW=0 newLR=0
v_add_f32 v188, -v[vgprG2LA+4+0+1], 0              // Ai=-Ai
v_mfma_f32_32x32x2f32 v[0+0:15+0], v[vgprValuB_X1_I0+0+0+0], v[vgprG2LA+4+0], v[0:15]
 // Cr += Ar*Br
/*  mfmaIndex:17  */
/* localReadsVacancy: latencyLeft 13 */
v_mfma_f32_32x32x2f32 v[64+0:79+0], v[vgprValuB_X1_I0+0+0+0], v[vgprG2LA+4+0+1], v[64:79]
 // Ci += Ai*Br
/*  mfmaIndex:18  */
/* localReadsVacancy: latencyLeft 13 */
v_mfma_f32_32x32x2f32 v[0+0:15+0], v[vgprValuB_X1_I0+0+0+0+1], v188, v[0:15]
 // Cr += -Ai*Bi
/*  mfmaIndex:19  */
/* localReadsVacancy: latencyLeft 13 */
v_mfma_f32_32x32x2f32 v[64+0:79+0], v[vgprValuB_X1_I0+0+0+0+1], v[vgprG2LA+4+0], v[64:79]
 // Ci += Ar*Bi
/*  mfmaIndex:20  */
/* localReadsVacancy: latencyLeft 13 */
v_mfma_f32_32x32x2f32 v[32+0:47+0], v[vgprValuB_X1_I0+2+0+0], v[vgprG2LA+4+0], v[32:47]
 // Cr += Ar*Br
/*  mfmaIndex:21  */
/* localReadsVacancy: latencyLeft 13 */
v_mfma_f32_32x32x2f32 v[96+0:111+0], v[vgprValuB_X1_I0+2+0+0], v[vgprG2LA+4+0+1], v[96:111]
 // Ci += Ai*Br
/*  mfmaIndex:22  */
/* localReadsVacancy: latencyLeft 13 */
v_mfma_f32_32x32x2f32 v[32+0:47+0], v[vgprValuB_X1_I0+2+0+0+1], v188, v[32:47]
 // Cr += -Ai*Bi
/*  mfmaIndex:23  */
/* localReadsVacancy: latencyLeft 13 */
v_mfma_f32_32x32x2f32 v[96+0:111+0], v[vgprValuB_X1_I0+2+0+0+1], v[vgprG2LA+4+0], v[96:111]
 // Ci += Ar*Bi
/*  mfmaIndex:24  */
/* localReadsVacancy: latencyLeft 13 */
v_add_f32 v188, -v[vgprG2LA+6+0+1], 0              // Ai=-Ai
v_mfma_f32_32x32x2f32 v[16+0:31+0], v[vgprValuB_X1_I0+0+0+0], v[vgprG2LA+6+0], v[16:31]
 // Cr += Ar*Br
/*  mfmaIndex:25  */
/* localReadsVacancy: latencyLeft 13 */
v_mfma_f32_32x32x2f32 v[80+0:95+0], v[vgprValuB_X1_I0+0+0+0], v[vgprG2LA+6+0+1], v[80:95]
 // Ci += Ai*Br
/*  mfmaIndex:26  */
/* localReadsVacancy: latencyLeft 13 */
v_mfma_f32_32x32x2f32 v[16+0:31+0], v[vgprValuB_X1_I0+0+0+0+1], v188, v[16:31]
 // Cr += -Ai*Bi
/*  mfmaIndex:27  */
/* localReadsVacancy: latencyLeft 13 */
v_mfma_f32_32x32x2f32 v[80+0:95+0], v[vgprValuB_X1_I0+0+0+0+1], v[vgprG2LA+6+0], v[80:95]
 // Ci += Ar*Bi
/*  mfmaIndex:28  */
/* localReadsVacancy: latencyLeft 13 */
v_mfma_f32_32x32x2f32 v[48+0:63+0], v[vgprValuB_X1_I0+2+0+0], v[vgprG2LA+6+0], v[48:63]
 // Cr += Ar*Br
/*  mfmaIndex:29  */
/* localReadsVacancy: latencyLeft 13 */
v_mfma_f32_32x32x2f32 v[112+0:127+0], v[vgprValuB_X1_I0+2+0+0], v[vgprG2LA+6+0+1], v[112:127]
 // Ci += Ai*Br
/*  mfmaIndex:30  */
/* localReadsVacancy: latencyLeft 13 */
v_mfma_f32_32x32x2f32 v[48+0:63+0], v[vgprValuB_X1_I0+2+0+0+1], v188, v[48:63]
 // Cr += -Ai*Bi
/*  mfmaIndex:31  */
/* localReadsVacancy: latencyLeft 13 */
v_mfma_f32_32x32x2f32 v[112+0:127+0], v[vgprValuB_X1_I0+2+0+0+1], v[vgprG2LA+6+0], v[112:127]
 // Ci += Ar*Bi
/* numPrefetchIter=0 */
/* dataAtIterA=0 numReadsIterA=2 skipReadsIterA=1 readsPerIterA=1 */
/* dataAtIterB=0 numReadsIterB=2 skipReadsIterB=1 readsPerIterB=2 */


/* iter 2 (reset local read pointers iteration)  (swap and reset local write pointers iteration)  (swap local read pointers iteration)  */

s_waitcnt vmcnt(6)                                 // lgkmcnt=-1 vmcnt=6global read wait for DirectToVgpr

/*  grEndMfmaIndex:3, lwStartMfmaIndex:46, lwEndMfmaIndex:47  */
/*  numMfmaForLR:1, barrierMfmaIndex:62, LocalWritePerMfma:0.165 */
/*  mfmaIndex:32  */
/* localReadsVacancy: latencyLeft 13 */
s_waitcnt lgkmcnt(0)                               // lgkmcnt=0 vmcnt=-1wait for prior local read local write old=0, new=0 newLW=0 newLR=0
v_add_f32 v188, -v[vgprG2LA+8+0+1], 0              // Ai=-Ai
v_mfma_f32_32x32x2f32 v[0+0:15+0], v[vgprValuB_X2_I0+0+0+0], v[vgprG2LA+8+0], v[0:15]
 // Cr += Ar*Br
/*  mfmaIndex:33  */
/* localReadsVacancy: latencyLeft 13 */
v_mfma_f32_32x32x2f32 v[64+0:79+0], v[vgprValuB_X2_I0+0+0+0], v[vgprG2LA+8+0+1], v[64:79]
 // Ci += Ai*Br
/*  mfmaIndex:34  */
/* localReadsVacancy: latencyLeft 13 */
v_mfma_f32_32x32x2f32 v[0+0:15+0], v[vgprValuB_X2_I0+0+0+0+1], v188, v[0:15]
 // Cr += -Ai*Bi
/*  mfmaIndex:35  */
/* localReadsVacancy: latencyLeft 13 */
v_mfma_f32_32x32x2f32 v[64+0:79+0], v[vgprValuB_X2_I0+0+0+0+1], v[vgprG2LA+8+0], v[64:79]
 // Ci += Ar*Bi
/*  mfmaIndex:36  */
/* localReadsVacancy: latencyLeft 13 */
v_mfma_f32_32x32x2f32 v[32+0:47+0], v[vgprValuB_X2_I0+2+0+0], v[vgprG2LA+8+0], v[32:47]
 // Cr += Ar*Br
/*  mfmaIndex:37  */
/* localReadsVacancy: latencyLeft 13 */
v_mfma_f32_32x32x2f32 v[96+0:111+0], v[vgprValuB_X2_I0+2+0+0], v[vgprG2LA+8+0+1], v[96:111]
 // Ci += Ai*Br
/*  mfmaIndex:38  */
/* localReadsVacancy: latencyLeft 13 */
v_mfma_f32_32x32x2f32 v[32+0:47+0], v[vgprValuB_X2_I0+2+0+0+1], v188, v[32:47]
 // Cr += -Ai*Bi
/*  mfmaIndex:39  */
/* localReadsVacancy: latencyLeft 13 */
v_mfma_f32_32x32x2f32 v[96+0:111+0], v[vgprValuB_X2_I0+2+0+0+1], v[vgprG2LA+8+0], v[96:111]
 // Ci += Ar*Bi
/*  mfmaIndex:40  */
/* localReadsVacancy: latencyLeft 13 */
v_add_f32 v188, -v[vgprG2LA+10+0+1], 0             // Ai=-Ai
v_mfma_f32_32x32x2f32 v[16+0:31+0], v[vgprValuB_X2_I0+0+0+0], v[vgprG2LA+10+0], v[16:31]
 // Cr += Ar*Br
/*  mfmaIndex:41  */
/* localReadsVacancy: latencyLeft 13 */
v_mfma_f32_32x32x2f32 v[80+0:95+0], v[vgprValuB_X2_I0+0+0+0], v[vgprG2LA+10+0+1], v[80:95]
 // Ci += Ai*Br
/*  mfmaIndex:42  */
/* localReadsVacancy: latencyLeft 13 */
v_mfma_f32_32x32x2f32 v[16+0:31+0], v[vgprValuB_X2_I0+0+0+0+1], v188, v[16:31]
 // Cr += -Ai*Bi
/*  mfmaIndex:43  */
/* localReadsVacancy: latencyLeft 13 */
v_mfma_f32_32x32x2f32 v[80+0:95+0], v[vgprValuB_X2_I0+0+0+0+1], v[vgprG2LA+10+0], v[80:95]
 // Ci += Ar*Bi
/*  mfmaIndex:44  */
/* localReadsVacancy: latencyLeft 13 */
v_mfma_f32_32x32x2f32 v[48+0:63+0], v[vgprValuB_X2_I0+2+0+0], v[vgprG2LA+10+0], v[48:63]
 // Cr += Ar*Br
/*  mfmaIndex:45  */
/* localReadsVacancy: latencyLeft 13 */
/* 1 LDS buffer: read-sync-write */
s_waitcnt lgkmcnt(0)                               // 
s_barrier                                          // 
v_mfma_f32_32x32x2f32 v[112+0:127+0], v[vgprValuB_X2_I0+2+0+0], v[vgprG2LA+10+0+1], v[112:127]
 // Ci += Ai*Br
/*  mfmaIndex:46  */
/* localReadsVacancy: latencyLeft 3 */
s_setprio 3                                        // store optimization
/* sched write - iter 2 writesPerItem=1 */
s_waitcnt vmcnt(0)                                 // lgkmcnt=-1 vmcnt=0wait for global read before writing to local
_ds_store_b128 v[vgprLocalWriteAddrB], v[vgprG2LB+0:vgprG2LB+0+3] offset:0 // lwoB_0_0_0_0 = (0*LSCB) + (0*LSPB)(*MT1J+PAD) = 0
v_mfma_f32_32x32x2f32 v[48+0:63+0], v[vgprValuB_X2_I0+2+0+0+1], v188, v[48:63]
 // Cr += -Ai*Bi
/*  mfmaIndex:47  */
_buffer_load_b128 v[vgprG2LB+0:vgprG2LB+0+3], v[vgprGlobalReadOffsetB+0], s[sgprSrdB:sgprSrdB+3], 0, offen offset:0 // G -> Reg 0_0_0_0

/* local write swap offsets a */

/* local write swap offsets b */

/* local read swap offsets a */

/* local read swap offsets b */

/* local read init pointers a */

/* local read init pointers b */

/* localReadInitPointers */
v_mfma_f32_32x32x2f32 v[112+0:127+0], v[vgprValuB_X2_I0+2+0+0+1], v[vgprG2LA+10+0], v[112:127]
 // Ci += Ar*Bi
/* numPrefetchIter=0 */
/* dataAtIterA=1 numReadsIterA=3 skipReadsIterA=1 readsPerIterA=1 */
/* dataAtIterB=1 numReadsIterB=3 skipReadsIterB=1 readsPerIterB=2 */


/* iter 3 */

/*  grEndMfmaIndex:3, lwStartMfmaIndex:46, lwEndMfmaIndex:47  */
/*  numMfmaForLR:1, barrierMfmaIndex:62, LocalWritePerMfma:0.165 */
/*  mfmaIndex:48  */
v_add_f32 v188, -v[vgprG2LA+12+0+1], 0             // Ai=-Ai
v_mfma_f32_32x32x2f32 v[0+0:15+0], v[vgprValuB_X3_I0+0+0+0], v[vgprG2LA+12+0], v[0:15]
 // Cr += Ar*Br
/*  mfmaIndex:49  */
v_mfma_f32_32x32x2f32 v[64+0:79+0], v[vgprValuB_X3_I0+0+0+0], v[vgprG2LA+12+0+1], v[64:79]
 // Ci += Ai*Br
/*  mfmaIndex:50  */
v_mfma_f32_32x32x2f32 v[0+0:15+0], v[vgprValuB_X3_I0+0+0+0+1], v188, v[0:15]
 // Cr += -Ai*Bi
/*  mfmaIndex:51  */
v_mfma_f32_32x32x2f32 v[64+0:79+0], v[vgprValuB_X3_I0+0+0+0+1], v[vgprG2LA+12+0], v[64:79]
 // Ci += Ar*Bi
_buffer_load_b128 v[vgprG2LA0+0:vgprG2LA0+0+3], v[vgprGlobalReadOffsetA+0], s[sgprSrdA:sgprSrdA+3], 0, offen offset:0 // G -> Reg 0_0_0_0
/*  mfmaIndex:52  */
v_mfma_f32_32x32x2f32 v[32+0:47+0], v[vgprValuB_X3_I0+2+0+0], v[vgprG2LA+12+0], v[32:47]
 // Cr += Ar*Br
/*  mfmaIndex:53  */
v_mfma_f32_32x32x2f32 v[96+0:111+0], v[vgprValuB_X3_I0+2+0+0], v[vgprG2LA+12+0+1], v[96:111]
 // Ci += Ai*Br
/*  mfmaIndex:54  */
v_mfma_f32_32x32x2f32 v[32+0:47+0], v[vgprValuB_X3_I0+2+0+0+1], v188, v[32:47]
 // Cr += -Ai*Bi
/*  mfmaIndex:55  */
v_mfma_f32_32x32x2f32 v[96+0:111+0], v[vgprValuB_X3_I0+2+0+0+1], v[vgprG2LA+12+0], v[96:111]
 // Ci += Ar*Bi
_buffer_load_b128 v[vgprG2LA0+4:vgprG2LA0+4+3], v[vgprGlobalReadOffsetA+1], s[sgprSrdA:sgprSrdA+3], 0, offen offset:0 // G -> Reg 0_0_1_0
/*  mfmaIndex:56  */
v_add_f32 v188, -v[vgprG2LA+14+0+1], 0             // Ai=-Ai
v_mfma_f32_32x32x2f32 v[16+0:31+0], v[vgprValuB_X3_I0+0+0+0], v[vgprG2LA+14+0], v[16:31]
 // Cr += Ar*Br
/*  mfmaIndex:57  */
v_mfma_f32_32x32x2f32 v[80+0:95+0], v[vgprValuB_X3_I0+0+0+0], v[vgprG2LA+14+0+1], v[80:95]
 // Ci += Ai*Br
/*  mfmaIndex:58  */
v_mfma_f32_32x32x2f32 v[16+0:31+0], v[vgprValuB_X3_I0+0+0+0+1], v188, v[16:31]
 // Cr += -Ai*Bi
/*  mfmaIndex:59  */
v_mfma_f32_32x32x2f32 v[80+0:95+0], v[vgprValuB_X3_I0+0+0+0+1], v[vgprG2LA+14+0], v[80:95]
 // Ci += Ar*Bi
_buffer_load_b128 v[vgprG2LA0+8:vgprG2LA0+8+3], v[vgprGlobalReadOffsetA+2], s[sgprSrdA:sgprSrdA+3], 0, offen offset:0 // G -> Reg 0_0_2_0
/*  mfmaIndex:60  */
v_mfma_f32_32x32x2f32 v[48+0:63+0], v[vgprValuB_X3_I0+2+0+0], v[vgprG2LA+14+0], v[48:63]
 // Cr += Ar*Br
/*  mfmaIndex:61  */
v_mfma_f32_32x32x2f32 v[112+0:127+0], v[vgprValuB_X3_I0+2+0+0], v[vgprG2LA+14+0+1], v[112:127]
 // Ci += Ai*Br
s_setprio 0                                        // store optimization
/*  mfmaIndex:62  */
s_waitcnt lgkmcnt(0)                               // lgkmcnt=0 vmcnt=-13wait for local write
s_barrier
v_mfma_f32_32x32x2f32 v[48+0:63+0], v[vgprValuB_X3_I0+2+0+0+1], v188, v[48:63]
 // Cr += -Ai*Bi
/*  mfmaIndex:63  */
s_setprio 3                                        // store optimization
_ds_load_b64 v[vgprValuB_X0_I0+0:vgprValuB_X0_I0+0+1], v[vgprLocalReadAddrB] offset:0 // L -> Reg lro=0 swapByteOffset=0 ti=32 vIdx=0 rIdx=0 oIdx=0 buffer=0 iui=0
_ds_load_b64 v[vgprValuB_X0_I0+2:vgprValuB_X0_I0+2+1], v[vgprLocalReadAddrB] offset:256 // L -> Reg lro=0 swapByteOffset=0 ti=32 vIdx=1 rIdx=0 oIdx=0 buffer=0 iui=0
v_mfma_f32_32x32x2f32 v[112+0:127+0], v[vgprValuB_X3_I0+2+0+0+1], v[vgprG2LA+14+0], v[112:127]
 // Ci += Ar*Bi
_buffer_load_b128 v[vgprG2LA0+12:vgprG2LA0+12+3], v[vgprGlobalReadOffsetA+3], s[sgprSrdA:sgprSrdA+3], 0, offen offset:0 // G -> Reg 0_0_3_0
s_setprio 0                                        // store optimization


/******************************************/
/* Unrolled Loop - End 1/2                */
/******************************************/


/* closeLoop loopL finalLoop=0 tailLoop=0 */
s_sub_u32 s[sgprLoopCounterL], s[sgprLoopCounterL], 1 // dec counterL
s_cmp_eq_i32 s[sgprLoopCounterL], 0x2              // counterL==2
s_cbranch_scc1 LoopEndL_oddexit_3                  // exit LoopL


/******************************************/
/* Unrolled Loop 2/2 - Begin              */
/******************************************/

label_0016: // LoopCopy2 


/* Begin Each Unroll: Check VGPR.checkin for INT8 LW */


	;; [unrolled: 1-line block ×3, first 2 shown]
/* iter 0 */

s_waitcnt vmcnt(8)                                 // lgkmcnt=-1 vmcnt=8global read wait for DirectToVgpr

/*  grEndMfmaIndex:3, lwStartMfmaIndex:46, lwEndMfmaIndex:47  */
/*  numMfmaForLR:1, barrierMfmaIndex:62, LocalWritePerMfma:0.165 */
/*  mfmaIndex:0  */
s_waitcnt lgkmcnt(0)                               // lgkmcnt=0 vmcnt=-1wait for prior local read local write old=0, new=0 newLW=0 newLR=0
v_add_f32 v188, -v[vgprG2LA+16+0+1], 0             // Ai=-Ai
v_mfma_f32_32x32x2f32 v[0+0:15+0], v[vgprValuB_X0_I0+0+0+0], v[vgprG2LA+16+0], v[0:15]
 // Cr += Ar*Br
/*  mfmaIndex:1  */
_ds_load_b64 v[vgprValuB_X1_I0+0:vgprValuB_X1_I0+0+1], v[vgprLocalReadAddrB] offset:1024 // L -> Reg lro=128 swapByteOffset=0 ti=32 vIdx=0 rIdx=0 oIdx=0 buffer=1 iui=0
_ds_load_b64 v[vgprValuB_X1_I0+2:vgprValuB_X1_I0+2+1], v[vgprLocalReadAddrB] offset:1280 // L -> Reg lro=128 swapByteOffset=0 ti=32 vIdx=1 rIdx=0 oIdx=0 buffer=1 iui=0
/* localReadsVacancy: latencyLeft 9 */
_ds_load_b64 v[vgprValuB_X2_I0+0:vgprValuB_X2_I0+0+1], v[vgprLocalReadAddrB] offset:2048 // L -> Reg lro=256 swapByteOffset=0 ti=32 vIdx=0 rIdx=0 oIdx=0 buffer=2 iui=0
_ds_load_b64 v[vgprValuB_X2_I0+2:vgprValuB_X2_I0+2+1], v[vgprLocalReadAddrB] offset:2304 // L -> Reg lro=256 swapByteOffset=0 ti=32 vIdx=1 rIdx=0 oIdx=0 buffer=2 iui=0
_ds_load_b64 v[vgprValuB_X3_I0+0:vgprValuB_X3_I0+0+1], v[vgprLocalReadAddrB] offset:3072 // L -> Reg lro=384 swapByteOffset=0 ti=32 vIdx=0 rIdx=0 oIdx=0 buffer=3 iui=0
_ds_load_b64 v[vgprValuB_X3_I0+2:vgprValuB_X3_I0+2+1], v[vgprLocalReadAddrB] offset:3328 // L -> Reg lro=384 swapByteOffset=0 ti=32 vIdx=1 rIdx=0 oIdx=0 buffer=3 iui=0

/* global read inc B loopL */
s_cmp_eq_u32 s[sgprLoopCounterL], s[sgprStaggerUIter] // Is this the wrapIter?
s_cselect_b32 s58, s[sgprWrapUB+0], s[sgprGlobalReadIncsB+0] // incLower <- ?
s_cselect_b32 s59, s[sgprWrapUB+1], 0              // incUpper <- ?
s_add_u32 s[sgprSrdB+0], s[sgprSrdB+0], s58        // gra SRD += inc(lower)
s_addc_u32  s[sgprSrdB+1], s[sgprSrdB+1], s59      // gra SRD += inc(upper)
s_sub_u32 s[sgprShadowLimitB+0], s[sgprShadowLimitB+0], s58 // limit -= inc)
s_subb_u32 s[sgprShadowLimitB+1], s[sgprShadowLimitB+1], s59 // limit -= inc)
v_mfma_f32_32x32x2f32 v[64+0:79+0], v[vgprValuB_X0_I0+0+0+0], v[vgprG2LA+16+0+1], v[64:79]
 // Ci += Ai*Br
/*  mfmaIndex:2  */
/* localReadsVacancy: latencyLeft 13 */
s_cmp_eq_u32 s[sgprShadowLimitB+1], 0              // are we within 2^32?
s_cselect_b32 s[sgprSrdB+2], s[sgprShadowLimitB+0], BufferLimitB // Move shadow to real if we are within 2^32

/* global read inc A loopL */
s_cmp_eq_u32 s[sgprLoopCounterL], s[sgprStaggerUIter] // Is this the wrapIter?
s_cselect_b32 s58, s[sgprWrapUA+0], s[sgprGlobalReadIncsA+0] // incLower <- ?
s_cselect_b32 s59, s[sgprWrapUA+1], 0              // incUpper <- ?
s_add_u32 s[sgprSrdA+0], s[sgprSrdA+0], s58        // gra SRD += inc(lower)
s_addc_u32  s[sgprSrdA+1], s[sgprSrdA+1], s59      // gra SRD += inc(upper)
v_mfma_f32_32x32x2f32 v[0+0:15+0], v[vgprValuB_X0_I0+0+0+0+1], v188, v[0:15]
 // Cr += -Ai*Bi
/*  mfmaIndex:3  */
/* localReadsVacancy: latencyLeft 13 */
s_sub_u32 s[sgprShadowLimitA+0], s[sgprShadowLimitA+0], s58 // limit -= inc)
s_subb_u32 s[sgprShadowLimitA+1], s[sgprShadowLimitA+1], s59 // limit -= inc)
s_cmp_eq_u32 s[sgprShadowLimitA+1], 0              // are we within 2^32?
s_cselect_b32 s[sgprSrdA+2], s[sgprShadowLimitA+0], BufferLimitA // Move shadow to real if we are within 2^32
v_mfma_f32_32x32x2f32 v[64+0:79+0], v[vgprValuB_X0_I0+0+0+0+1], v[vgprG2LA+16+0], v[64:79]
 // Ci += Ar*Bi
/*  mfmaIndex:4  */
/* localReadsVacancy: latencyLeft 13 */
v_mfma_f32_32x32x2f32 v[32+0:47+0], v[vgprValuB_X0_I0+2+0+0], v[vgprG2LA+16+0], v[32:47]
 // Cr += Ar*Br
/*  mfmaIndex:5  */
/* localReadsVacancy: latencyLeft 13 */
v_mfma_f32_32x32x2f32 v[96+0:111+0], v[vgprValuB_X0_I0+2+0+0], v[vgprG2LA+16+0+1], v[96:111]
 // Ci += Ai*Br
/*  mfmaIndex:6  */
/* localReadsVacancy: latencyLeft 13 */
v_mfma_f32_32x32x2f32 v[32+0:47+0], v[vgprValuB_X0_I0+2+0+0+1], v188, v[32:47]
 // Cr += -Ai*Bi
/*  mfmaIndex:7  */
/* localReadsVacancy: latencyLeft 13 */
v_mfma_f32_32x32x2f32 v[96+0:111+0], v[vgprValuB_X0_I0+2+0+0+1], v[vgprG2LA+16+0], v[96:111]
 // Ci += Ar*Bi
/*  mfmaIndex:8  */
/* localReadsVacancy: latencyLeft 13 */
v_add_f32 v188, -v[vgprG2LA+18+0+1], 0             // Ai=-Ai
v_mfma_f32_32x32x2f32 v[16+0:31+0], v[vgprValuB_X0_I0+0+0+0], v[vgprG2LA+18+0], v[16:31]
 // Cr += Ar*Br
/*  mfmaIndex:9  */
/* localReadsVacancy: latencyLeft 13 */
v_mfma_f32_32x32x2f32 v[80+0:95+0], v[vgprValuB_X0_I0+0+0+0], v[vgprG2LA+18+0+1], v[80:95]
 // Ci += Ai*Br
/*  mfmaIndex:10  */
/* localReadsVacancy: latencyLeft 13 */
v_mfma_f32_32x32x2f32 v[16+0:31+0], v[vgprValuB_X0_I0+0+0+0+1], v188, v[16:31]
 // Cr += -Ai*Bi
/*  mfmaIndex:11  */
/* localReadsVacancy: latencyLeft 13 */
v_mfma_f32_32x32x2f32 v[80+0:95+0], v[vgprValuB_X0_I0+0+0+0+1], v[vgprG2LA+18+0], v[80:95]
 // Ci += Ar*Bi
/*  mfmaIndex:12  */
/* localReadsVacancy: latencyLeft 13 */
v_mfma_f32_32x32x2f32 v[48+0:63+0], v[vgprValuB_X0_I0+2+0+0], v[vgprG2LA+18+0], v[48:63]
 // Cr += Ar*Br
/*  mfmaIndex:13  */
/* localReadsVacancy: latencyLeft 13 */
v_mfma_f32_32x32x2f32 v[112+0:127+0], v[vgprValuB_X0_I0+2+0+0], v[vgprG2LA+18+0+1], v[112:127]
 // Ci += Ai*Br
/*  mfmaIndex:14  */
/* localReadsVacancy: latencyLeft 13 */
v_mfma_f32_32x32x2f32 v[48+0:63+0], v[vgprValuB_X0_I0+2+0+0+1], v188, v[48:63]
 // Cr += -Ai*Bi
/*  mfmaIndex:15  */
/* localReadsVacancy: latencyLeft 13 */
v_mfma_f32_32x32x2f32 v[112+0:127+0], v[vgprValuB_X0_I0+2+0+0+1], v[vgprG2LA+18+0], v[112:127]
 // Ci += Ar*Bi
/* numPrefetchIter=0 */
/* dataAtIterA=-1 numReadsIterA=1 skipReadsIterA=1 readsPerIterA=1 */
/* dataAtIterB=-1 numReadsIterB=1 skipReadsIterB=1 readsPerIterB=2 */


/* iter 1 */

s_waitcnt vmcnt(7)                                 // lgkmcnt=-1 vmcnt=7global read wait for DirectToVgpr

/*  grEndMfmaIndex:3, lwStartMfmaIndex:46, lwEndMfmaIndex:47  */
/*  numMfmaForLR:1, barrierMfmaIndex:62, LocalWritePerMfma:0.165 */
/*  mfmaIndex:16  */
/* localReadsVacancy: latencyLeft 13 */
s_waitcnt lgkmcnt(4)                               // lgkmcnt=0 vmcnt=-1wait for prior local read local write old=2, new=2 newLW=0 newLR=0
v_add_f32 v188, -v[vgprG2LA+20+0+1], 0             // Ai=-Ai
v_mfma_f32_32x32x2f32 v[0+0:15+0], v[vgprValuB_X1_I0+0+0+0], v[vgprG2LA+20+0], v[0:15]
 // Cr += Ar*Br
/*  mfmaIndex:17  */
/* localReadsVacancy: latencyLeft 13 */
v_mfma_f32_32x32x2f32 v[64+0:79+0], v[vgprValuB_X1_I0+0+0+0], v[vgprG2LA+20+0+1], v[64:79]
 // Ci += Ai*Br
/*  mfmaIndex:18  */
/* localReadsVacancy: latencyLeft 13 */
v_mfma_f32_32x32x2f32 v[0+0:15+0], v[vgprValuB_X1_I0+0+0+0+1], v188, v[0:15]
 // Cr += -Ai*Bi
/*  mfmaIndex:19  */
/* localReadsVacancy: latencyLeft 13 */
v_mfma_f32_32x32x2f32 v[64+0:79+0], v[vgprValuB_X1_I0+0+0+0+1], v[vgprG2LA+20+0], v[64:79]
 // Ci += Ar*Bi
/*  mfmaIndex:20  */
/* localReadsVacancy: latencyLeft 13 */
v_mfma_f32_32x32x2f32 v[32+0:47+0], v[vgprValuB_X1_I0+2+0+0], v[vgprG2LA+20+0], v[32:47]
 // Cr += Ar*Br
/*  mfmaIndex:21  */
/* localReadsVacancy: latencyLeft 13 */
v_mfma_f32_32x32x2f32 v[96+0:111+0], v[vgprValuB_X1_I0+2+0+0], v[vgprG2LA+20+0+1], v[96:111]
 // Ci += Ai*Br
/*  mfmaIndex:22  */
/* localReadsVacancy: latencyLeft 13 */
v_mfma_f32_32x32x2f32 v[32+0:47+0], v[vgprValuB_X1_I0+2+0+0+1], v188, v[32:47]
 // Cr += -Ai*Bi
/*  mfmaIndex:23  */
/* localReadsVacancy: latencyLeft 13 */
v_mfma_f32_32x32x2f32 v[96+0:111+0], v[vgprValuB_X1_I0+2+0+0+1], v[vgprG2LA+20+0], v[96:111]
 // Ci += Ar*Bi
/*  mfmaIndex:24  */
/* localReadsVacancy: latencyLeft 13 */
v_add_f32 v188, -v[vgprG2LA+22+0+1], 0             // Ai=-Ai
v_mfma_f32_32x32x2f32 v[16+0:31+0], v[vgprValuB_X1_I0+0+0+0], v[vgprG2LA+22+0], v[16:31]
 // Cr += Ar*Br
/*  mfmaIndex:25  */
/* localReadsVacancy: latencyLeft 13 */
v_mfma_f32_32x32x2f32 v[80+0:95+0], v[vgprValuB_X1_I0+0+0+0], v[vgprG2LA+22+0+1], v[80:95]
 // Ci += Ai*Br
/*  mfmaIndex:26  */
/* localReadsVacancy: latencyLeft 13 */
v_mfma_f32_32x32x2f32 v[16+0:31+0], v[vgprValuB_X1_I0+0+0+0+1], v188, v[16:31]
 // Cr += -Ai*Bi
/*  mfmaIndex:27  */
/* localReadsVacancy: latencyLeft 13 */
v_mfma_f32_32x32x2f32 v[80+0:95+0], v[vgprValuB_X1_I0+0+0+0+1], v[vgprG2LA+22+0], v[80:95]
 // Ci += Ar*Bi
/*  mfmaIndex:28  */
/* localReadsVacancy: latencyLeft 13 */
v_mfma_f32_32x32x2f32 v[48+0:63+0], v[vgprValuB_X1_I0+2+0+0], v[vgprG2LA+22+0], v[48:63]
 // Cr += Ar*Br
/*  mfmaIndex:29  */
/* localReadsVacancy: latencyLeft 13 */
v_mfma_f32_32x32x2f32 v[112+0:127+0], v[vgprValuB_X1_I0+2+0+0], v[vgprG2LA+22+0+1], v[112:127]
 // Ci += Ai*Br
/*  mfmaIndex:30  */
/* localReadsVacancy: latencyLeft 13 */
v_mfma_f32_32x32x2f32 v[48+0:63+0], v[vgprValuB_X1_I0+2+0+0+1], v188, v[48:63]
 // Cr += -Ai*Bi
/*  mfmaIndex:31  */
/* localReadsVacancy: latencyLeft 13 */
v_mfma_f32_32x32x2f32 v[112+0:127+0], v[vgprValuB_X1_I0+2+0+0+1], v[vgprG2LA+22+0], v[112:127]
 // Ci += Ar*Bi
/* numPrefetchIter=0 */
/* dataAtIterA=0 numReadsIterA=2 skipReadsIterA=1 readsPerIterA=1 */
/* dataAtIterB=0 numReadsIterB=2 skipReadsIterB=1 readsPerIterB=2 */


/* iter 2 (reset local read pointers iteration)  (swap and reset local write pointers iteration)  (swap local read pointers iteration)  */

s_waitcnt vmcnt(6)                                 // lgkmcnt=-1 vmcnt=6global read wait for DirectToVgpr

/*  grEndMfmaIndex:3, lwStartMfmaIndex:46, lwEndMfmaIndex:47  */
/*  numMfmaForLR:1, barrierMfmaIndex:62, LocalWritePerMfma:0.165 */
/*  mfmaIndex:32  */
/* localReadsVacancy: latencyLeft 13 */
s_waitcnt lgkmcnt(0)                               // lgkmcnt=0 vmcnt=-1wait for prior local read local write old=0, new=0 newLW=0 newLR=0
v_add_f32 v188, -v[vgprG2LA+24+0+1], 0             // Ai=-Ai
v_mfma_f32_32x32x2f32 v[0+0:15+0], v[vgprValuB_X2_I0+0+0+0], v[vgprG2LA+24+0], v[0:15]
 // Cr += Ar*Br
/*  mfmaIndex:33  */
/* localReadsVacancy: latencyLeft 13 */
v_mfma_f32_32x32x2f32 v[64+0:79+0], v[vgprValuB_X2_I0+0+0+0], v[vgprG2LA+24+0+1], v[64:79]
 // Ci += Ai*Br
/*  mfmaIndex:34  */
/* localReadsVacancy: latencyLeft 13 */
v_mfma_f32_32x32x2f32 v[0+0:15+0], v[vgprValuB_X2_I0+0+0+0+1], v188, v[0:15]
 // Cr += -Ai*Bi
/*  mfmaIndex:35  */
/* localReadsVacancy: latencyLeft 13 */
v_mfma_f32_32x32x2f32 v[64+0:79+0], v[vgprValuB_X2_I0+0+0+0+1], v[vgprG2LA+24+0], v[64:79]
 // Ci += Ar*Bi
/*  mfmaIndex:36  */
/* localReadsVacancy: latencyLeft 13 */
v_mfma_f32_32x32x2f32 v[32+0:47+0], v[vgprValuB_X2_I0+2+0+0], v[vgprG2LA+24+0], v[32:47]
 // Cr += Ar*Br
/*  mfmaIndex:37  */
/* localReadsVacancy: latencyLeft 13 */
v_mfma_f32_32x32x2f32 v[96+0:111+0], v[vgprValuB_X2_I0+2+0+0], v[vgprG2LA+24+0+1], v[96:111]
 // Ci += Ai*Br
/*  mfmaIndex:38  */
/* localReadsVacancy: latencyLeft 13 */
v_mfma_f32_32x32x2f32 v[32+0:47+0], v[vgprValuB_X2_I0+2+0+0+1], v188, v[32:47]
 // Cr += -Ai*Bi
/*  mfmaIndex:39  */
/* localReadsVacancy: latencyLeft 13 */
v_mfma_f32_32x32x2f32 v[96+0:111+0], v[vgprValuB_X2_I0+2+0+0+1], v[vgprG2LA+24+0], v[96:111]
 // Ci += Ar*Bi
/*  mfmaIndex:40  */
/* localReadsVacancy: latencyLeft 13 */
v_add_f32 v188, -v[vgprG2LA+26+0+1], 0             // Ai=-Ai
v_mfma_f32_32x32x2f32 v[16+0:31+0], v[vgprValuB_X2_I0+0+0+0], v[vgprG2LA+26+0], v[16:31]
 // Cr += Ar*Br
/*  mfmaIndex:41  */
/* localReadsVacancy: latencyLeft 13 */
v_mfma_f32_32x32x2f32 v[80+0:95+0], v[vgprValuB_X2_I0+0+0+0], v[vgprG2LA+26+0+1], v[80:95]
 // Ci += Ai*Br
/*  mfmaIndex:42  */
/* localReadsVacancy: latencyLeft 13 */
v_mfma_f32_32x32x2f32 v[16+0:31+0], v[vgprValuB_X2_I0+0+0+0+1], v188, v[16:31]
 // Cr += -Ai*Bi
/*  mfmaIndex:43  */
/* localReadsVacancy: latencyLeft 13 */
v_mfma_f32_32x32x2f32 v[80+0:95+0], v[vgprValuB_X2_I0+0+0+0+1], v[vgprG2LA+26+0], v[80:95]
 // Ci += Ar*Bi
/*  mfmaIndex:44  */
/* localReadsVacancy: latencyLeft 13 */
v_mfma_f32_32x32x2f32 v[48+0:63+0], v[vgprValuB_X2_I0+2+0+0], v[vgprG2LA+26+0], v[48:63]
 // Cr += Ar*Br
/*  mfmaIndex:45  */
/* localReadsVacancy: latencyLeft 13 */
/* 1 LDS buffer: read-sync-write */
s_waitcnt lgkmcnt(0)                               // 
s_barrier                                          // 
v_mfma_f32_32x32x2f32 v[112+0:127+0], v[vgprValuB_X2_I0+2+0+0], v[vgprG2LA+26+0+1], v[112:127]
 // Ci += Ai*Br
/*  mfmaIndex:46  */
/* localReadsVacancy: latencyLeft 3 */
s_setprio 3                                        // store optimization
/* sched write - iter 2 writesPerItem=1 */
s_waitcnt vmcnt(0)                                 // lgkmcnt=-1 vmcnt=0wait for global read before writing to local
_ds_store_b128 v[vgprLocalWriteAddrB], v[vgprG2LB+0:vgprG2LB+0+3] offset:0 // lwoB_0_0_0_0 = (0*LSCB) + (0*LSPB)(*MT1J+PAD) = 0
v_mfma_f32_32x32x2f32 v[48+0:63+0], v[vgprValuB_X2_I0+2+0+0+1], v188, v[48:63]
 // Cr += -Ai*Bi
/*  mfmaIndex:47  */
_buffer_load_b128 v[vgprG2LB+0:vgprG2LB+0+3], v[vgprGlobalReadOffsetB+0], s[sgprSrdB:sgprSrdB+3], 0, offen offset:0 // G -> Reg 0_0_0_0

/* local write swap offsets a */

/* local write swap offsets b */

/* local read swap offsets a */

/* local read swap offsets b */

/* local read init pointers a */

/* local read init pointers b */

/* localReadInitPointers */
v_mfma_f32_32x32x2f32 v[112+0:127+0], v[vgprValuB_X2_I0+2+0+0+1], v[vgprG2LA+26+0], v[112:127]
 // Ci += Ar*Bi
/* numPrefetchIter=0 */
/* dataAtIterA=1 numReadsIterA=3 skipReadsIterA=1 readsPerIterA=1 */
/* dataAtIterB=1 numReadsIterB=3 skipReadsIterB=1 readsPerIterB=2 */


/* iter 3 */

/*  grEndMfmaIndex:3, lwStartMfmaIndex:46, lwEndMfmaIndex:47  */
/*  numMfmaForLR:1, barrierMfmaIndex:62, LocalWritePerMfma:0.165 */
/*  mfmaIndex:48  */
v_add_f32 v188, -v[vgprG2LA+28+0+1], 0             // Ai=-Ai
v_mfma_f32_32x32x2f32 v[0+0:15+0], v[vgprValuB_X3_I0+0+0+0], v[vgprG2LA+28+0], v[0:15]
 // Cr += Ar*Br
/*  mfmaIndex:49  */
v_mfma_f32_32x32x2f32 v[64+0:79+0], v[vgprValuB_X3_I0+0+0+0], v[vgprG2LA+28+0+1], v[64:79]
 // Ci += Ai*Br
/*  mfmaIndex:50  */
v_mfma_f32_32x32x2f32 v[0+0:15+0], v[vgprValuB_X3_I0+0+0+0+1], v188, v[0:15]
 // Cr += -Ai*Bi
/*  mfmaIndex:51  */
v_mfma_f32_32x32x2f32 v[64+0:79+0], v[vgprValuB_X3_I0+0+0+0+1], v[vgprG2LA+28+0], v[64:79]
 // Ci += Ar*Bi
_buffer_load_b128 v[vgprG2LA1+0:vgprG2LA1+0+3], v[vgprGlobalReadOffsetA+0], s[sgprSrdA:sgprSrdA+3], 0, offen offset:0 // G -> Reg 0_0_0_0
/*  mfmaIndex:52  */
v_mfma_f32_32x32x2f32 v[32+0:47+0], v[vgprValuB_X3_I0+2+0+0], v[vgprG2LA+28+0], v[32:47]
 // Cr += Ar*Br
/*  mfmaIndex:53  */
v_mfma_f32_32x32x2f32 v[96+0:111+0], v[vgprValuB_X3_I0+2+0+0], v[vgprG2LA+28+0+1], v[96:111]
 // Ci += Ai*Br
/*  mfmaIndex:54  */
v_mfma_f32_32x32x2f32 v[32+0:47+0], v[vgprValuB_X3_I0+2+0+0+1], v188, v[32:47]
 // Cr += -Ai*Bi
/*  mfmaIndex:55  */
v_mfma_f32_32x32x2f32 v[96+0:111+0], v[vgprValuB_X3_I0+2+0+0+1], v[vgprG2LA+28+0], v[96:111]
 // Ci += Ar*Bi
_buffer_load_b128 v[vgprG2LA1+4:vgprG2LA1+4+3], v[vgprGlobalReadOffsetA+1], s[sgprSrdA:sgprSrdA+3], 0, offen offset:0 // G -> Reg 0_0_1_0
/*  mfmaIndex:56  */
v_add_f32 v188, -v[vgprG2LA+30+0+1], 0             // Ai=-Ai
v_mfma_f32_32x32x2f32 v[16+0:31+0], v[vgprValuB_X3_I0+0+0+0], v[vgprG2LA+30+0], v[16:31]
 // Cr += Ar*Br
/*  mfmaIndex:57  */
v_mfma_f32_32x32x2f32 v[80+0:95+0], v[vgprValuB_X3_I0+0+0+0], v[vgprG2LA+30+0+1], v[80:95]
 // Ci += Ai*Br
/*  mfmaIndex:58  */
v_mfma_f32_32x32x2f32 v[16+0:31+0], v[vgprValuB_X3_I0+0+0+0+1], v188, v[16:31]
 // Cr += -Ai*Bi
/*  mfmaIndex:59  */
v_mfma_f32_32x32x2f32 v[80+0:95+0], v[vgprValuB_X3_I0+0+0+0+1], v[vgprG2LA+30+0], v[80:95]
 // Ci += Ar*Bi
_buffer_load_b128 v[vgprG2LA1+8:vgprG2LA1+8+3], v[vgprGlobalReadOffsetA+2], s[sgprSrdA:sgprSrdA+3], 0, offen offset:0 // G -> Reg 0_0_2_0
/*  mfmaIndex:60  */
v_mfma_f32_32x32x2f32 v[48+0:63+0], v[vgprValuB_X3_I0+2+0+0], v[vgprG2LA+30+0], v[48:63]
 // Cr += Ar*Br
/*  mfmaIndex:61  */
v_mfma_f32_32x32x2f32 v[112+0:127+0], v[vgprValuB_X3_I0+2+0+0], v[vgprG2LA+30+0+1], v[112:127]
 // Ci += Ai*Br
s_setprio 0                                        // store optimization
/*  mfmaIndex:62  */
s_waitcnt lgkmcnt(0)                               // lgkmcnt=0 vmcnt=-13wait for local write
s_barrier
v_mfma_f32_32x32x2f32 v[48+0:63+0], v[vgprValuB_X3_I0+2+0+0+1], v188, v[48:63]
 // Cr += -Ai*Bi
/*  mfmaIndex:63  */
s_setprio 3                                        // store optimization
_ds_load_b64 v[vgprValuB_X0_I0+0:vgprValuB_X0_I0+0+1], v[vgprLocalReadAddrB] offset:0 // L -> Reg lro=0 swapByteOffset=0 ti=32 vIdx=0 rIdx=0 oIdx=0 buffer=0 iui=0
_ds_load_b64 v[vgprValuB_X0_I0+2:vgprValuB_X0_I0+2+1], v[vgprLocalReadAddrB] offset:256 // L -> Reg lro=0 swapByteOffset=0 ti=32 vIdx=1 rIdx=0 oIdx=0 buffer=0 iui=0
v_mfma_f32_32x32x2f32 v[112+0:127+0], v[vgprValuB_X3_I0+2+0+0+1], v[vgprG2LA+30+0], v[112:127]
 // Ci += Ar*Bi
_buffer_load_b128 v[vgprG2LA1+12:vgprG2LA1+12+3], v[vgprGlobalReadOffsetA+3], s[sgprSrdA:sgprSrdA+3], 0, offen offset:0 // G -> Reg 0_0_3_0
s_setprio 0                                        // store optimization


/******************************************/
/* Unrolled Loop - End 2/2 (final)        */
/******************************************/


/* closeLoop loopL finalLoop=1 tailLoop=0 */
s_sub_u32 s[sgprLoopCounterL], s[sgprLoopCounterL], 1 // dec counterL
s_cmp_eq_i32 s[sgprLoopCounterL], 0x2              // counterL==2
s_cbranch_scc0 LoopBeginL_1                        // restart LoopL
LoopEndL_evenexit_4: // unroll loop eveniter exit
s_branch LoopEndL_2                                // exit unroll loopL (and skip second exit code)
LoopEndL_oddexit_3: // unroll loop odditer exit

/* Select high bank of LDS */
LoopEndL_2:


/* Before NLL: Check VGPR.checkin for INT8 LW */


/******************************************/
/* Ord. NoGlobalLoadLoop - Begin                                      */
/******************************************/


s_and_b32 s58, s[sgprOrigLoopCounter], 1           // test if OrigLoopCounter is Odd ?
s_cbranch_scc0 label_0017                          // Skip odd code if OrigLoopCounter is Even


/* iter 0 */

s_waitcnt vmcnt(8)                                 // lgkmcnt=-1 vmcnt=8global read wait for DirectToVgpr

/*  grEndMfmaIndex:3, lwStartMfmaIndex:46, lwEndMfmaIndex:47  */
/*  numMfmaForLR:1, barrierMfmaIndex:62, LocalWritePerMfma:0.165 */
/*  mfmaIndex:0  */
s_waitcnt lgkmcnt(0)                               // lgkmcnt=0 vmcnt=-1wait for prior local read local write old=0, new=0 newLW=0 newLR=0
v_add_f32 v188, -v[vgprG2LA+16+0+1], 0             // Ai=-Ai
v_mfma_f32_32x32x2f32 v[0+0:15+0], v[vgprValuB_X0_I0+0+0+0], v[vgprG2LA+16+0], v[0:15]
 // Cr += Ar*Br
/*  mfmaIndex:1  */
_ds_load_b64 v[vgprValuB_X1_I0+0:vgprValuB_X1_I0+0+1], v[vgprLocalReadAddrB] offset:1024 // L -> Reg lro=128 swapByteOffset=0 ti=32 vIdx=0 rIdx=0 oIdx=0 buffer=1 iui=0
_ds_load_b64 v[vgprValuB_X1_I0+2:vgprValuB_X1_I0+2+1], v[vgprLocalReadAddrB] offset:1280 // L -> Reg lro=128 swapByteOffset=0 ti=32 vIdx=1 rIdx=0 oIdx=0 buffer=1 iui=0
/* localReadsVacancy: latencyLeft 9 */
_ds_load_b64 v[vgprValuB_X2_I0+0:vgprValuB_X2_I0+0+1], v[vgprLocalReadAddrB] offset:2048 // L -> Reg lro=256 swapByteOffset=0 ti=32 vIdx=0 rIdx=0 oIdx=0 buffer=2 iui=0
_ds_load_b64 v[vgprValuB_X2_I0+2:vgprValuB_X2_I0+2+1], v[vgprLocalReadAddrB] offset:2304 // L -> Reg lro=256 swapByteOffset=0 ti=32 vIdx=1 rIdx=0 oIdx=0 buffer=2 iui=0
_ds_load_b64 v[vgprValuB_X3_I0+0:vgprValuB_X3_I0+0+1], v[vgprLocalReadAddrB] offset:3072 // L -> Reg lro=384 swapByteOffset=0 ti=32 vIdx=0 rIdx=0 oIdx=0 buffer=3 iui=0
_ds_load_b64 v[vgprValuB_X3_I0+2:vgprValuB_X3_I0+2+1], v[vgprLocalReadAddrB] offset:3328 // L -> Reg lro=384 swapByteOffset=0 ti=32 vIdx=1 rIdx=0 oIdx=0 buffer=3 iui=0

/* global read inc B loopL */
s_cmp_eq_u32 s[sgprLoopCounterL], s[sgprStaggerUIter] // Is this the wrapIter?
s_cselect_b32 s58, s[sgprWrapUB+0], s[sgprGlobalReadIncsB+0] // incLower <- ?
s_cselect_b32 s59, s[sgprWrapUB+1], 0              // incUpper <- ?
s_add_u32 s[sgprSrdB+0], s[sgprSrdB+0], s58        // gra SRD += inc(lower)
s_addc_u32  s[sgprSrdB+1], s[sgprSrdB+1], s59      // gra SRD += inc(upper)
s_sub_u32 s[sgprShadowLimitB+0], s[sgprShadowLimitB+0], s58 // limit -= inc)
s_subb_u32 s[sgprShadowLimitB+1], s[sgprShadowLimitB+1], s59 // limit -= inc)
v_mfma_f32_32x32x2f32 v[64+0:79+0], v[vgprValuB_X0_I0+0+0+0], v[vgprG2LA+16+0+1], v[64:79]
 // Ci += Ai*Br
/*  mfmaIndex:2  */
/* localReadsVacancy: latencyLeft 13 */
s_cmp_eq_u32 s[sgprShadowLimitB+1], 0              // are we within 2^32?
s_cselect_b32 s[sgprSrdB+2], s[sgprShadowLimitB+0], BufferLimitB // Move shadow to real if we are within 2^32

/* global read inc A loopL */
s_cmp_eq_u32 s[sgprLoopCounterL], s[sgprStaggerUIter] // Is this the wrapIter?
s_cselect_b32 s58, s[sgprWrapUA+0], s[sgprGlobalReadIncsA+0] // incLower <- ?
s_cselect_b32 s59, s[sgprWrapUA+1], 0              // incUpper <- ?
s_add_u32 s[sgprSrdA+0], s[sgprSrdA+0], s58        // gra SRD += inc(lower)
s_addc_u32  s[sgprSrdA+1], s[sgprSrdA+1], s59      // gra SRD += inc(upper)
v_mfma_f32_32x32x2f32 v[0+0:15+0], v[vgprValuB_X0_I0+0+0+0+1], v188, v[0:15]
 // Cr += -Ai*Bi
/*  mfmaIndex:3  */
/* localReadsVacancy: latencyLeft 13 */
s_sub_u32 s[sgprShadowLimitA+0], s[sgprShadowLimitA+0], s58 // limit -= inc)
s_subb_u32 s[sgprShadowLimitA+1], s[sgprShadowLimitA+1], s59 // limit -= inc)
s_cmp_eq_u32 s[sgprShadowLimitA+1], 0              // are we within 2^32?
s_cselect_b32 s[sgprSrdA+2], s[sgprShadowLimitA+0], BufferLimitA // Move shadow to real if we are within 2^32
v_mfma_f32_32x32x2f32 v[64+0:79+0], v[vgprValuB_X0_I0+0+0+0+1], v[vgprG2LA+16+0], v[64:79]
 // Ci += Ar*Bi
/*  mfmaIndex:4  */
/* localReadsVacancy: latencyLeft 13 */
v_mfma_f32_32x32x2f32 v[32+0:47+0], v[vgprValuB_X0_I0+2+0+0], v[vgprG2LA+16+0], v[32:47]
 // Cr += Ar*Br
/*  mfmaIndex:5  */
/* localReadsVacancy: latencyLeft 13 */
v_mfma_f32_32x32x2f32 v[96+0:111+0], v[vgprValuB_X0_I0+2+0+0], v[vgprG2LA+16+0+1], v[96:111]
 // Ci += Ai*Br
/*  mfmaIndex:6  */
/* localReadsVacancy: latencyLeft 13 */
v_mfma_f32_32x32x2f32 v[32+0:47+0], v[vgprValuB_X0_I0+2+0+0+1], v188, v[32:47]
 // Cr += -Ai*Bi
/*  mfmaIndex:7  */
/* localReadsVacancy: latencyLeft 13 */
v_mfma_f32_32x32x2f32 v[96+0:111+0], v[vgprValuB_X0_I0+2+0+0+1], v[vgprG2LA+16+0], v[96:111]
 // Ci += Ar*Bi
/*  mfmaIndex:8  */
/* localReadsVacancy: latencyLeft 13 */
v_add_f32 v188, -v[vgprG2LA+18+0+1], 0             // Ai=-Ai
v_mfma_f32_32x32x2f32 v[16+0:31+0], v[vgprValuB_X0_I0+0+0+0], v[vgprG2LA+18+0], v[16:31]
 // Cr += Ar*Br
/*  mfmaIndex:9  */
/* localReadsVacancy: latencyLeft 13 */
v_mfma_f32_32x32x2f32 v[80+0:95+0], v[vgprValuB_X0_I0+0+0+0], v[vgprG2LA+18+0+1], v[80:95]
 // Ci += Ai*Br
/*  mfmaIndex:10  */
/* localReadsVacancy: latencyLeft 13 */
v_mfma_f32_32x32x2f32 v[16+0:31+0], v[vgprValuB_X0_I0+0+0+0+1], v188, v[16:31]
 // Cr += -Ai*Bi
/*  mfmaIndex:11  */
/* localReadsVacancy: latencyLeft 13 */
v_mfma_f32_32x32x2f32 v[80+0:95+0], v[vgprValuB_X0_I0+0+0+0+1], v[vgprG2LA+18+0], v[80:95]
 // Ci += Ar*Bi
/*  mfmaIndex:12  */
/* localReadsVacancy: latencyLeft 13 */
v_mfma_f32_32x32x2f32 v[48+0:63+0], v[vgprValuB_X0_I0+2+0+0], v[vgprG2LA+18+0], v[48:63]
 // Cr += Ar*Br
/*  mfmaIndex:13  */
/* localReadsVacancy: latencyLeft 13 */
v_mfma_f32_32x32x2f32 v[112+0:127+0], v[vgprValuB_X0_I0+2+0+0], v[vgprG2LA+18+0+1], v[112:127]
 // Ci += Ai*Br
/*  mfmaIndex:14  */
/* localReadsVacancy: latencyLeft 13 */
v_mfma_f32_32x32x2f32 v[48+0:63+0], v[vgprValuB_X0_I0+2+0+0+1], v188, v[48:63]
 // Cr += -Ai*Bi
/*  mfmaIndex:15  */
/* localReadsVacancy: latencyLeft 13 */
v_mfma_f32_32x32x2f32 v[112+0:127+0], v[vgprValuB_X0_I0+2+0+0+1], v[vgprG2LA+18+0], v[112:127]
 // Ci += Ar*Bi
/* numPrefetchIter=0 */
/* dataAtIterA=-1 numReadsIterA=1 skipReadsIterA=1 readsPerIterA=1 */
/* dataAtIterB=-1 numReadsIterB=1 skipReadsIterB=1 readsPerIterB=2 */


/* iter 1 */

s_waitcnt vmcnt(7)                                 // lgkmcnt=-1 vmcnt=7global read wait for DirectToVgpr

/*  grEndMfmaIndex:3, lwStartMfmaIndex:46, lwEndMfmaIndex:47  */
/*  numMfmaForLR:1, barrierMfmaIndex:62, LocalWritePerMfma:0.165 */
/*  mfmaIndex:16  */
/* localReadsVacancy: latencyLeft 13 */
s_waitcnt lgkmcnt(4)                               // lgkmcnt=0 vmcnt=-1wait for prior local read local write old=2, new=2 newLW=0 newLR=0
v_add_f32 v188, -v[vgprG2LA+20+0+1], 0             // Ai=-Ai
v_mfma_f32_32x32x2f32 v[0+0:15+0], v[vgprValuB_X1_I0+0+0+0], v[vgprG2LA+20+0], v[0:15]
 // Cr += Ar*Br
/*  mfmaIndex:17  */
/* localReadsVacancy: latencyLeft 13 */
v_mfma_f32_32x32x2f32 v[64+0:79+0], v[vgprValuB_X1_I0+0+0+0], v[vgprG2LA+20+0+1], v[64:79]
 // Ci += Ai*Br
/*  mfmaIndex:18  */
/* localReadsVacancy: latencyLeft 13 */
v_mfma_f32_32x32x2f32 v[0+0:15+0], v[vgprValuB_X1_I0+0+0+0+1], v188, v[0:15]
 // Cr += -Ai*Bi
/*  mfmaIndex:19  */
/* localReadsVacancy: latencyLeft 13 */
v_mfma_f32_32x32x2f32 v[64+0:79+0], v[vgprValuB_X1_I0+0+0+0+1], v[vgprG2LA+20+0], v[64:79]
 // Ci += Ar*Bi
/*  mfmaIndex:20  */
/* localReadsVacancy: latencyLeft 13 */
v_mfma_f32_32x32x2f32 v[32+0:47+0], v[vgprValuB_X1_I0+2+0+0], v[vgprG2LA+20+0], v[32:47]
 // Cr += Ar*Br
/*  mfmaIndex:21  */
/* localReadsVacancy: latencyLeft 13 */
v_mfma_f32_32x32x2f32 v[96+0:111+0], v[vgprValuB_X1_I0+2+0+0], v[vgprG2LA+20+0+1], v[96:111]
 // Ci += Ai*Br
/*  mfmaIndex:22  */
/* localReadsVacancy: latencyLeft 13 */
v_mfma_f32_32x32x2f32 v[32+0:47+0], v[vgprValuB_X1_I0+2+0+0+1], v188, v[32:47]
 // Cr += -Ai*Bi
/*  mfmaIndex:23  */
/* localReadsVacancy: latencyLeft 13 */
v_mfma_f32_32x32x2f32 v[96+0:111+0], v[vgprValuB_X1_I0+2+0+0+1], v[vgprG2LA+20+0], v[96:111]
 // Ci += Ar*Bi
/*  mfmaIndex:24  */
/* localReadsVacancy: latencyLeft 13 */
v_add_f32 v188, -v[vgprG2LA+22+0+1], 0             // Ai=-Ai
v_mfma_f32_32x32x2f32 v[16+0:31+0], v[vgprValuB_X1_I0+0+0+0], v[vgprG2LA+22+0], v[16:31]
 // Cr += Ar*Br
/*  mfmaIndex:25  */
/* localReadsVacancy: latencyLeft 13 */
v_mfma_f32_32x32x2f32 v[80+0:95+0], v[vgprValuB_X1_I0+0+0+0], v[vgprG2LA+22+0+1], v[80:95]
 // Ci += Ai*Br
/*  mfmaIndex:26  */
/* localReadsVacancy: latencyLeft 13 */
v_mfma_f32_32x32x2f32 v[16+0:31+0], v[vgprValuB_X1_I0+0+0+0+1], v188, v[16:31]
 // Cr += -Ai*Bi
/*  mfmaIndex:27  */
/* localReadsVacancy: latencyLeft 13 */
v_mfma_f32_32x32x2f32 v[80+0:95+0], v[vgprValuB_X1_I0+0+0+0+1], v[vgprG2LA+22+0], v[80:95]
 // Ci += Ar*Bi
/*  mfmaIndex:28  */
/* localReadsVacancy: latencyLeft 13 */
v_mfma_f32_32x32x2f32 v[48+0:63+0], v[vgprValuB_X1_I0+2+0+0], v[vgprG2LA+22+0], v[48:63]
 // Cr += Ar*Br
/*  mfmaIndex:29  */
/* localReadsVacancy: latencyLeft 13 */
v_mfma_f32_32x32x2f32 v[112+0:127+0], v[vgprValuB_X1_I0+2+0+0], v[vgprG2LA+22+0+1], v[112:127]
 // Ci += Ai*Br
/*  mfmaIndex:30  */
/* localReadsVacancy: latencyLeft 13 */
v_mfma_f32_32x32x2f32 v[48+0:63+0], v[vgprValuB_X1_I0+2+0+0+1], v188, v[48:63]
 // Cr += -Ai*Bi
/*  mfmaIndex:31  */
/* localReadsVacancy: latencyLeft 13 */
v_mfma_f32_32x32x2f32 v[112+0:127+0], v[vgprValuB_X1_I0+2+0+0+1], v[vgprG2LA+22+0], v[112:127]
 // Ci += Ar*Bi
/* numPrefetchIter=0 */
/* dataAtIterA=0 numReadsIterA=2 skipReadsIterA=1 readsPerIterA=1 */
/* dataAtIterB=0 numReadsIterB=2 skipReadsIterB=1 readsPerIterB=2 */


/* iter 2 (reset local read pointers iteration)  (swap and reset local write pointers iteration)  (swap local read pointers iteration)  */

s_waitcnt vmcnt(6)                                 // lgkmcnt=-1 vmcnt=6global read wait for DirectToVgpr

/*  grEndMfmaIndex:3, lwStartMfmaIndex:46, lwEndMfmaIndex:47  */
/*  numMfmaForLR:1, barrierMfmaIndex:62, LocalWritePerMfma:0.165 */
/*  mfmaIndex:32  */
/* localReadsVacancy: latencyLeft 13 */
s_waitcnt lgkmcnt(0)                               // lgkmcnt=0 vmcnt=-1wait for prior local read local write old=0, new=0 newLW=0 newLR=0
v_add_f32 v188, -v[vgprG2LA+24+0+1], 0             // Ai=-Ai
v_mfma_f32_32x32x2f32 v[0+0:15+0], v[vgprValuB_X2_I0+0+0+0], v[vgprG2LA+24+0], v[0:15]
 // Cr += Ar*Br
/*  mfmaIndex:33  */
/* localReadsVacancy: latencyLeft 13 */
v_mfma_f32_32x32x2f32 v[64+0:79+0], v[vgprValuB_X2_I0+0+0+0], v[vgprG2LA+24+0+1], v[64:79]
 // Ci += Ai*Br
/*  mfmaIndex:34  */
/* localReadsVacancy: latencyLeft 13 */
v_mfma_f32_32x32x2f32 v[0+0:15+0], v[vgprValuB_X2_I0+0+0+0+1], v188, v[0:15]
 // Cr += -Ai*Bi
/*  mfmaIndex:35  */
/* localReadsVacancy: latencyLeft 13 */
v_mfma_f32_32x32x2f32 v[64+0:79+0], v[vgprValuB_X2_I0+0+0+0+1], v[vgprG2LA+24+0], v[64:79]
 // Ci += Ar*Bi
/*  mfmaIndex:36  */
/* localReadsVacancy: latencyLeft 13 */
v_mfma_f32_32x32x2f32 v[32+0:47+0], v[vgprValuB_X2_I0+2+0+0], v[vgprG2LA+24+0], v[32:47]
 // Cr += Ar*Br
/*  mfmaIndex:37  */
/* localReadsVacancy: latencyLeft 13 */
v_mfma_f32_32x32x2f32 v[96+0:111+0], v[vgprValuB_X2_I0+2+0+0], v[vgprG2LA+24+0+1], v[96:111]
 // Ci += Ai*Br
/*  mfmaIndex:38  */
/* localReadsVacancy: latencyLeft 13 */
v_mfma_f32_32x32x2f32 v[32+0:47+0], v[vgprValuB_X2_I0+2+0+0+1], v188, v[32:47]
 // Cr += -Ai*Bi
/*  mfmaIndex:39  */
/* localReadsVacancy: latencyLeft 13 */
v_mfma_f32_32x32x2f32 v[96+0:111+0], v[vgprValuB_X2_I0+2+0+0+1], v[vgprG2LA+24+0], v[96:111]
 // Ci += Ar*Bi
/*  mfmaIndex:40  */
/* localReadsVacancy: latencyLeft 13 */
v_add_f32 v188, -v[vgprG2LA+26+0+1], 0             // Ai=-Ai
v_mfma_f32_32x32x2f32 v[16+0:31+0], v[vgprValuB_X2_I0+0+0+0], v[vgprG2LA+26+0], v[16:31]
 // Cr += Ar*Br
/*  mfmaIndex:41  */
/* localReadsVacancy: latencyLeft 13 */
v_mfma_f32_32x32x2f32 v[80+0:95+0], v[vgprValuB_X2_I0+0+0+0], v[vgprG2LA+26+0+1], v[80:95]
 // Ci += Ai*Br
/*  mfmaIndex:42  */
/* localReadsVacancy: latencyLeft 13 */
v_mfma_f32_32x32x2f32 v[16+0:31+0], v[vgprValuB_X2_I0+0+0+0+1], v188, v[16:31]
 // Cr += -Ai*Bi
/*  mfmaIndex:43  */
/* localReadsVacancy: latencyLeft 13 */
v_mfma_f32_32x32x2f32 v[80+0:95+0], v[vgprValuB_X2_I0+0+0+0+1], v[vgprG2LA+26+0], v[80:95]
 // Ci += Ar*Bi
/*  mfmaIndex:44  */
/* localReadsVacancy: latencyLeft 13 */
v_mfma_f32_32x32x2f32 v[48+0:63+0], v[vgprValuB_X2_I0+2+0+0], v[vgprG2LA+26+0], v[48:63]
 // Cr += Ar*Br
/*  mfmaIndex:45  */
/* localReadsVacancy: latencyLeft 13 */
/* 1 LDS buffer: read-sync-write */
s_waitcnt lgkmcnt(0)                               // 
s_barrier                                          // 
v_mfma_f32_32x32x2f32 v[112+0:127+0], v[vgprValuB_X2_I0+2+0+0], v[vgprG2LA+26+0+1], v[112:127]
 // Ci += Ai*Br
/*  mfmaIndex:46  */
/* localReadsVacancy: latencyLeft 3 */
s_setprio 3                                        // store optimization
/* sched write - iter 2 writesPerItem=1 */
s_waitcnt vmcnt(0)                                 // lgkmcnt=-1 vmcnt=0wait for global read before writing to local
_ds_store_b128 v[vgprLocalWriteAddrB], v[vgprG2LB+0:vgprG2LB+0+3] offset:0 // lwoB_0_0_0_0 = (0*LSCB) + (0*LSPB)(*MT1J+PAD) = 0
v_mfma_f32_32x32x2f32 v[48+0:63+0], v[vgprValuB_X2_I0+2+0+0+1], v188, v[48:63]
 // Cr += -Ai*Bi
/*  mfmaIndex:47  */

/* local write swap offsets a */

/* local write swap offsets b */

/* local read swap offsets a */

/* local read swap offsets b */

/* local read init pointers a */

/* local read init pointers b */

/* localReadInitPointers */
v_mfma_f32_32x32x2f32 v[112+0:127+0], v[vgprValuB_X2_I0+2+0+0+1], v[vgprG2LA+26+0], v[112:127]
 // Ci += Ar*Bi
/* numPrefetchIter=0 */
/* dataAtIterA=1 numReadsIterA=3 skipReadsIterA=1 readsPerIterA=1 */
/* dataAtIterB=1 numReadsIterB=3 skipReadsIterB=1 readsPerIterB=2 */


/* iter 3 */

/*  grEndMfmaIndex:3, lwStartMfmaIndex:46, lwEndMfmaIndex:47  */
/*  numMfmaForLR:1, barrierMfmaIndex:62, LocalWritePerMfma:0.165 */
/*  mfmaIndex:48  */
v_add_f32 v188, -v[vgprG2LA+28+0+1], 0             // Ai=-Ai
v_mfma_f32_32x32x2f32 v[0+0:15+0], v[vgprValuB_X3_I0+0+0+0], v[vgprG2LA+28+0], v[0:15]
 // Cr += Ar*Br
/*  mfmaIndex:49  */
v_mfma_f32_32x32x2f32 v[64+0:79+0], v[vgprValuB_X3_I0+0+0+0], v[vgprG2LA+28+0+1], v[64:79]
 // Ci += Ai*Br
/*  mfmaIndex:50  */
v_mfma_f32_32x32x2f32 v[0+0:15+0], v[vgprValuB_X3_I0+0+0+0+1], v188, v[0:15]
 // Cr += -Ai*Bi
/*  mfmaIndex:51  */
v_mfma_f32_32x32x2f32 v[64+0:79+0], v[vgprValuB_X3_I0+0+0+0+1], v[vgprG2LA+28+0], v[64:79]
 // Ci += Ar*Bi
/*  mfmaIndex:52  */
v_mfma_f32_32x32x2f32 v[32+0:47+0], v[vgprValuB_X3_I0+2+0+0], v[vgprG2LA+28+0], v[32:47]
 // Cr += Ar*Br
/*  mfmaIndex:53  */
v_mfma_f32_32x32x2f32 v[96+0:111+0], v[vgprValuB_X3_I0+2+0+0], v[vgprG2LA+28+0+1], v[96:111]
 // Ci += Ai*Br
/*  mfmaIndex:54  */
v_mfma_f32_32x32x2f32 v[32+0:47+0], v[vgprValuB_X3_I0+2+0+0+1], v188, v[32:47]
 // Cr += -Ai*Bi
/*  mfmaIndex:55  */
v_mfma_f32_32x32x2f32 v[96+0:111+0], v[vgprValuB_X3_I0+2+0+0+1], v[vgprG2LA+28+0], v[96:111]
 // Ci += Ar*Bi
/*  mfmaIndex:56  */
v_add_f32 v188, -v[vgprG2LA+30+0+1], 0             // Ai=-Ai
v_mfma_f32_32x32x2f32 v[16+0:31+0], v[vgprValuB_X3_I0+0+0+0], v[vgprG2LA+30+0], v[16:31]
 // Cr += Ar*Br
/*  mfmaIndex:57  */
v_mfma_f32_32x32x2f32 v[80+0:95+0], v[vgprValuB_X3_I0+0+0+0], v[vgprG2LA+30+0+1], v[80:95]
 // Ci += Ai*Br
/*  mfmaIndex:58  */
v_mfma_f32_32x32x2f32 v[16+0:31+0], v[vgprValuB_X3_I0+0+0+0+1], v188, v[16:31]
 // Cr += -Ai*Bi
/*  mfmaIndex:59  */
v_mfma_f32_32x32x2f32 v[80+0:95+0], v[vgprValuB_X3_I0+0+0+0+1], v[vgprG2LA+30+0], v[80:95]
 // Ci += Ar*Bi
/*  mfmaIndex:60  */
v_mfma_f32_32x32x2f32 v[48+0:63+0], v[vgprValuB_X3_I0+2+0+0], v[vgprG2LA+30+0], v[48:63]
 // Cr += Ar*Br
/*  mfmaIndex:61  */
v_mfma_f32_32x32x2f32 v[112+0:127+0], v[vgprValuB_X3_I0+2+0+0], v[vgprG2LA+30+0+1], v[112:127]
 // Ci += Ai*Br
s_setprio 0                                        // store optimization
/*  mfmaIndex:62  */
s_waitcnt lgkmcnt(0)                               // lgkmcnt=0 vmcnt=-13wait for local write
// Skip force waitcnt0
s_barrier //
v_mfma_f32_32x32x2f32 v[48+0:63+0], v[vgprValuB_X3_I0+2+0+0+1], v188, v[48:63]
 // Cr += -Ai*Bi
/*  mfmaIndex:63  */
s_setprio 3                                        // store optimization
_ds_load_b64 v[vgprValuB_X0_I0+0:vgprValuB_X0_I0+0+1], v[vgprLocalReadAddrB] offset:0 // L -> Reg lro=0 swapByteOffset=0 ti=32 vIdx=0 rIdx=0 oIdx=0 buffer=0 iui=0
_ds_load_b64 v[vgprValuB_X0_I0+2:vgprValuB_X0_I0+2+1], v[vgprLocalReadAddrB] offset:256 // L -> Reg lro=0 swapByteOffset=0 ti=32 vIdx=1 rIdx=0 oIdx=0 buffer=0 iui=0
v_mfma_f32_32x32x2f32 v[112+0:127+0], v[vgprValuB_X3_I0+2+0+0+1], v[vgprG2LA+30+0], v[112:127]
 // Ci += Ar*Bi
s_setprio 0                                        // store optimization

s_branch label_0018                                // Skip even code
label_0017: // EvenStartNoGlobalLoadLoopOrd 


/* iter 0 */

s_waitcnt vmcnt(8)                                 // lgkmcnt=-1 vmcnt=8global read wait for DirectToVgpr

/*  grEndMfmaIndex:3, lwStartMfmaIndex:46, lwEndMfmaIndex:47  */
/*  numMfmaForLR:1, barrierMfmaIndex:62, LocalWritePerMfma:0.165 */
/*  mfmaIndex:0  */
s_waitcnt lgkmcnt(0)                               // lgkmcnt=0 vmcnt=-1wait for prior local read local write old=0, new=0 newLW=0 newLR=0
v_add_f32 v188, -v[vgprG2LA+0+0+1], 0              // Ai=-Ai
v_mfma_f32_32x32x2f32 v[0+0:15+0], v[vgprValuB_X0_I0+0+0+0], v[vgprG2LA+0+0], v[0:15]
 // Cr += Ar*Br
/*  mfmaIndex:1  */
_ds_load_b64 v[vgprValuB_X1_I0+0:vgprValuB_X1_I0+0+1], v[vgprLocalReadAddrB] offset:1024 // L -> Reg lro=128 swapByteOffset=0 ti=32 vIdx=0 rIdx=0 oIdx=0 buffer=1 iui=0
_ds_load_b64 v[vgprValuB_X1_I0+2:vgprValuB_X1_I0+2+1], v[vgprLocalReadAddrB] offset:1280 // L -> Reg lro=128 swapByteOffset=0 ti=32 vIdx=1 rIdx=0 oIdx=0 buffer=1 iui=0
/* localReadsVacancy: latencyLeft 9 */
_ds_load_b64 v[vgprValuB_X2_I0+0:vgprValuB_X2_I0+0+1], v[vgprLocalReadAddrB] offset:2048 // L -> Reg lro=256 swapByteOffset=0 ti=32 vIdx=0 rIdx=0 oIdx=0 buffer=2 iui=0
_ds_load_b64 v[vgprValuB_X2_I0+2:vgprValuB_X2_I0+2+1], v[vgprLocalReadAddrB] offset:2304 // L -> Reg lro=256 swapByteOffset=0 ti=32 vIdx=1 rIdx=0 oIdx=0 buffer=2 iui=0
_ds_load_b64 v[vgprValuB_X3_I0+0:vgprValuB_X3_I0+0+1], v[vgprLocalReadAddrB] offset:3072 // L -> Reg lro=384 swapByteOffset=0 ti=32 vIdx=0 rIdx=0 oIdx=0 buffer=3 iui=0
_ds_load_b64 v[vgprValuB_X3_I0+2:vgprValuB_X3_I0+2+1], v[vgprLocalReadAddrB] offset:3328 // L -> Reg lro=384 swapByteOffset=0 ti=32 vIdx=1 rIdx=0 oIdx=0 buffer=3 iui=0

/* global read inc B loopL */
s_cmp_eq_u32 s[sgprLoopCounterL], s[sgprStaggerUIter] // Is this the wrapIter?
s_cselect_b32 s58, s[sgprWrapUB+0], s[sgprGlobalReadIncsB+0] // incLower <- ?
s_cselect_b32 s59, s[sgprWrapUB+1], 0              // incUpper <- ?
s_add_u32 s[sgprSrdB+0], s[sgprSrdB+0], s58        // gra SRD += inc(lower)
s_addc_u32  s[sgprSrdB+1], s[sgprSrdB+1], s59      // gra SRD += inc(upper)
s_sub_u32 s[sgprShadowLimitB+0], s[sgprShadowLimitB+0], s58 // limit -= inc)
s_subb_u32 s[sgprShadowLimitB+1], s[sgprShadowLimitB+1], s59 // limit -= inc)
v_mfma_f32_32x32x2f32 v[64+0:79+0], v[vgprValuB_X0_I0+0+0+0], v[vgprG2LA+0+0+1], v[64:79]
 // Ci += Ai*Br
/*  mfmaIndex:2  */
/* localReadsVacancy: latencyLeft 13 */
s_cmp_eq_u32 s[sgprShadowLimitB+1], 0              // are we within 2^32?
s_cselect_b32 s[sgprSrdB+2], s[sgprShadowLimitB+0], BufferLimitB // Move shadow to real if we are within 2^32

/* global read inc A loopL */
s_cmp_eq_u32 s[sgprLoopCounterL], s[sgprStaggerUIter] // Is this the wrapIter?
s_cselect_b32 s58, s[sgprWrapUA+0], s[sgprGlobalReadIncsA+0] // incLower <- ?
s_cselect_b32 s59, s[sgprWrapUA+1], 0              // incUpper <- ?
s_add_u32 s[sgprSrdA+0], s[sgprSrdA+0], s58        // gra SRD += inc(lower)
s_addc_u32  s[sgprSrdA+1], s[sgprSrdA+1], s59      // gra SRD += inc(upper)
v_mfma_f32_32x32x2f32 v[0+0:15+0], v[vgprValuB_X0_I0+0+0+0+1], v188, v[0:15]
 // Cr += -Ai*Bi
/*  mfmaIndex:3  */
/* localReadsVacancy: latencyLeft 13 */
s_sub_u32 s[sgprShadowLimitA+0], s[sgprShadowLimitA+0], s58 // limit -= inc)
s_subb_u32 s[sgprShadowLimitA+1], s[sgprShadowLimitA+1], s59 // limit -= inc)
s_cmp_eq_u32 s[sgprShadowLimitA+1], 0              // are we within 2^32?
s_cselect_b32 s[sgprSrdA+2], s[sgprShadowLimitA+0], BufferLimitA // Move shadow to real if we are within 2^32
v_mfma_f32_32x32x2f32 v[64+0:79+0], v[vgprValuB_X0_I0+0+0+0+1], v[vgprG2LA+0+0], v[64:79]
 // Ci += Ar*Bi
/*  mfmaIndex:4  */
/* localReadsVacancy: latencyLeft 13 */
v_mfma_f32_32x32x2f32 v[32+0:47+0], v[vgprValuB_X0_I0+2+0+0], v[vgprG2LA+0+0], v[32:47]
 // Cr += Ar*Br
/*  mfmaIndex:5  */
/* localReadsVacancy: latencyLeft 13 */
v_mfma_f32_32x32x2f32 v[96+0:111+0], v[vgprValuB_X0_I0+2+0+0], v[vgprG2LA+0+0+1], v[96:111]
 // Ci += Ai*Br
/*  mfmaIndex:6  */
/* localReadsVacancy: latencyLeft 13 */
v_mfma_f32_32x32x2f32 v[32+0:47+0], v[vgprValuB_X0_I0+2+0+0+1], v188, v[32:47]
 // Cr += -Ai*Bi
/*  mfmaIndex:7  */
/* localReadsVacancy: latencyLeft 13 */
v_mfma_f32_32x32x2f32 v[96+0:111+0], v[vgprValuB_X0_I0+2+0+0+1], v[vgprG2LA+0+0], v[96:111]
 // Ci += Ar*Bi
/*  mfmaIndex:8  */
/* localReadsVacancy: latencyLeft 13 */
v_add_f32 v188, -v[vgprG2LA+2+0+1], 0              // Ai=-Ai
v_mfma_f32_32x32x2f32 v[16+0:31+0], v[vgprValuB_X0_I0+0+0+0], v[vgprG2LA+2+0], v[16:31]
 // Cr += Ar*Br
/*  mfmaIndex:9  */
/* localReadsVacancy: latencyLeft 13 */
v_mfma_f32_32x32x2f32 v[80+0:95+0], v[vgprValuB_X0_I0+0+0+0], v[vgprG2LA+2+0+1], v[80:95]
 // Ci += Ai*Br
/*  mfmaIndex:10  */
/* localReadsVacancy: latencyLeft 13 */
v_mfma_f32_32x32x2f32 v[16+0:31+0], v[vgprValuB_X0_I0+0+0+0+1], v188, v[16:31]
 // Cr += -Ai*Bi
/*  mfmaIndex:11  */
/* localReadsVacancy: latencyLeft 13 */
v_mfma_f32_32x32x2f32 v[80+0:95+0], v[vgprValuB_X0_I0+0+0+0+1], v[vgprG2LA+2+0], v[80:95]
 // Ci += Ar*Bi
/*  mfmaIndex:12  */
/* localReadsVacancy: latencyLeft 13 */
v_mfma_f32_32x32x2f32 v[48+0:63+0], v[vgprValuB_X0_I0+2+0+0], v[vgprG2LA+2+0], v[48:63]
 // Cr += Ar*Br
/*  mfmaIndex:13  */
/* localReadsVacancy: latencyLeft 13 */
v_mfma_f32_32x32x2f32 v[112+0:127+0], v[vgprValuB_X0_I0+2+0+0], v[vgprG2LA+2+0+1], v[112:127]
 // Ci += Ai*Br
/*  mfmaIndex:14  */
/* localReadsVacancy: latencyLeft 13 */
v_mfma_f32_32x32x2f32 v[48+0:63+0], v[vgprValuB_X0_I0+2+0+0+1], v188, v[48:63]
 // Cr += -Ai*Bi
/*  mfmaIndex:15  */
/* localReadsVacancy: latencyLeft 13 */
v_mfma_f32_32x32x2f32 v[112+0:127+0], v[vgprValuB_X0_I0+2+0+0+1], v[vgprG2LA+2+0], v[112:127]
 // Ci += Ar*Bi
/* numPrefetchIter=0 */
/* dataAtIterA=-1 numReadsIterA=1 skipReadsIterA=1 readsPerIterA=1 */
/* dataAtIterB=-1 numReadsIterB=1 skipReadsIterB=1 readsPerIterB=2 */


/* iter 1 */

s_waitcnt vmcnt(7)                                 // lgkmcnt=-1 vmcnt=7global read wait for DirectToVgpr

/*  grEndMfmaIndex:3, lwStartMfmaIndex:46, lwEndMfmaIndex:47  */
/*  numMfmaForLR:1, barrierMfmaIndex:62, LocalWritePerMfma:0.165 */
/*  mfmaIndex:16  */
/* localReadsVacancy: latencyLeft 13 */
s_waitcnt lgkmcnt(4)                               // lgkmcnt=0 vmcnt=-1wait for prior local read local write old=2, new=2 newLW=0 newLR=0
v_add_f32 v188, -v[vgprG2LA+4+0+1], 0              // Ai=-Ai
v_mfma_f32_32x32x2f32 v[0+0:15+0], v[vgprValuB_X1_I0+0+0+0], v[vgprG2LA+4+0], v[0:15]
 // Cr += Ar*Br
/*  mfmaIndex:17  */
/* localReadsVacancy: latencyLeft 13 */
v_mfma_f32_32x32x2f32 v[64+0:79+0], v[vgprValuB_X1_I0+0+0+0], v[vgprG2LA+4+0+1], v[64:79]
 // Ci += Ai*Br
/*  mfmaIndex:18  */
/* localReadsVacancy: latencyLeft 13 */
v_mfma_f32_32x32x2f32 v[0+0:15+0], v[vgprValuB_X1_I0+0+0+0+1], v188, v[0:15]
 // Cr += -Ai*Bi
/*  mfmaIndex:19  */
/* localReadsVacancy: latencyLeft 13 */
v_mfma_f32_32x32x2f32 v[64+0:79+0], v[vgprValuB_X1_I0+0+0+0+1], v[vgprG2LA+4+0], v[64:79]
 // Ci += Ar*Bi
/*  mfmaIndex:20  */
/* localReadsVacancy: latencyLeft 13 */
v_mfma_f32_32x32x2f32 v[32+0:47+0], v[vgprValuB_X1_I0+2+0+0], v[vgprG2LA+4+0], v[32:47]
 // Cr += Ar*Br
/*  mfmaIndex:21  */
/* localReadsVacancy: latencyLeft 13 */
v_mfma_f32_32x32x2f32 v[96+0:111+0], v[vgprValuB_X1_I0+2+0+0], v[vgprG2LA+4+0+1], v[96:111]
 // Ci += Ai*Br
/*  mfmaIndex:22  */
/* localReadsVacancy: latencyLeft 13 */
v_mfma_f32_32x32x2f32 v[32+0:47+0], v[vgprValuB_X1_I0+2+0+0+1], v188, v[32:47]
 // Cr += -Ai*Bi
/*  mfmaIndex:23  */
/* localReadsVacancy: latencyLeft 13 */
v_mfma_f32_32x32x2f32 v[96+0:111+0], v[vgprValuB_X1_I0+2+0+0+1], v[vgprG2LA+4+0], v[96:111]
 // Ci += Ar*Bi
/*  mfmaIndex:24  */
/* localReadsVacancy: latencyLeft 13 */
v_add_f32 v188, -v[vgprG2LA+6+0+1], 0              // Ai=-Ai
v_mfma_f32_32x32x2f32 v[16+0:31+0], v[vgprValuB_X1_I0+0+0+0], v[vgprG2LA+6+0], v[16:31]
 // Cr += Ar*Br
/*  mfmaIndex:25  */
/* localReadsVacancy: latencyLeft 13 */
v_mfma_f32_32x32x2f32 v[80+0:95+0], v[vgprValuB_X1_I0+0+0+0], v[vgprG2LA+6+0+1], v[80:95]
 // Ci += Ai*Br
/*  mfmaIndex:26  */
/* localReadsVacancy: latencyLeft 13 */
v_mfma_f32_32x32x2f32 v[16+0:31+0], v[vgprValuB_X1_I0+0+0+0+1], v188, v[16:31]
 // Cr += -Ai*Bi
/*  mfmaIndex:27  */
/* localReadsVacancy: latencyLeft 13 */
v_mfma_f32_32x32x2f32 v[80+0:95+0], v[vgprValuB_X1_I0+0+0+0+1], v[vgprG2LA+6+0], v[80:95]
 // Ci += Ar*Bi
/*  mfmaIndex:28  */
/* localReadsVacancy: latencyLeft 13 */
v_mfma_f32_32x32x2f32 v[48+0:63+0], v[vgprValuB_X1_I0+2+0+0], v[vgprG2LA+6+0], v[48:63]
 // Cr += Ar*Br
/*  mfmaIndex:29  */
/* localReadsVacancy: latencyLeft 13 */
v_mfma_f32_32x32x2f32 v[112+0:127+0], v[vgprValuB_X1_I0+2+0+0], v[vgprG2LA+6+0+1], v[112:127]
 // Ci += Ai*Br
/*  mfmaIndex:30  */
/* localReadsVacancy: latencyLeft 13 */
v_mfma_f32_32x32x2f32 v[48+0:63+0], v[vgprValuB_X1_I0+2+0+0+1], v188, v[48:63]
 // Cr += -Ai*Bi
/*  mfmaIndex:31  */
/* localReadsVacancy: latencyLeft 13 */
v_mfma_f32_32x32x2f32 v[112+0:127+0], v[vgprValuB_X1_I0+2+0+0+1], v[vgprG2LA+6+0], v[112:127]
 // Ci += Ar*Bi
/* numPrefetchIter=0 */
/* dataAtIterA=0 numReadsIterA=2 skipReadsIterA=1 readsPerIterA=1 */
/* dataAtIterB=0 numReadsIterB=2 skipReadsIterB=1 readsPerIterB=2 */


/* iter 2 (reset local read pointers iteration)  (swap and reset local write pointers iteration)  (swap local read pointers iteration)  */

s_waitcnt vmcnt(6)                                 // lgkmcnt=-1 vmcnt=6global read wait for DirectToVgpr

/*  grEndMfmaIndex:3, lwStartMfmaIndex:46, lwEndMfmaIndex:47  */
/*  numMfmaForLR:1, barrierMfmaIndex:62, LocalWritePerMfma:0.165 */
/*  mfmaIndex:32  */
/* localReadsVacancy: latencyLeft 13 */
s_waitcnt lgkmcnt(0)                               // lgkmcnt=0 vmcnt=-1wait for prior local read local write old=0, new=0 newLW=0 newLR=0
v_add_f32 v188, -v[vgprG2LA+8+0+1], 0              // Ai=-Ai
v_mfma_f32_32x32x2f32 v[0+0:15+0], v[vgprValuB_X2_I0+0+0+0], v[vgprG2LA+8+0], v[0:15]
 // Cr += Ar*Br
/*  mfmaIndex:33  */
/* localReadsVacancy: latencyLeft 13 */
v_mfma_f32_32x32x2f32 v[64+0:79+0], v[vgprValuB_X2_I0+0+0+0], v[vgprG2LA+8+0+1], v[64:79]
 // Ci += Ai*Br
/*  mfmaIndex:34  */
/* localReadsVacancy: latencyLeft 13 */
v_mfma_f32_32x32x2f32 v[0+0:15+0], v[vgprValuB_X2_I0+0+0+0+1], v188, v[0:15]
 // Cr += -Ai*Bi
/*  mfmaIndex:35  */
/* localReadsVacancy: latencyLeft 13 */
v_mfma_f32_32x32x2f32 v[64+0:79+0], v[vgprValuB_X2_I0+0+0+0+1], v[vgprG2LA+8+0], v[64:79]
 // Ci += Ar*Bi
/*  mfmaIndex:36  */
/* localReadsVacancy: latencyLeft 13 */
v_mfma_f32_32x32x2f32 v[32+0:47+0], v[vgprValuB_X2_I0+2+0+0], v[vgprG2LA+8+0], v[32:47]
 // Cr += Ar*Br
/*  mfmaIndex:37  */
/* localReadsVacancy: latencyLeft 13 */
v_mfma_f32_32x32x2f32 v[96+0:111+0], v[vgprValuB_X2_I0+2+0+0], v[vgprG2LA+8+0+1], v[96:111]
 // Ci += Ai*Br
/*  mfmaIndex:38  */
/* localReadsVacancy: latencyLeft 13 */
v_mfma_f32_32x32x2f32 v[32+0:47+0], v[vgprValuB_X2_I0+2+0+0+1], v188, v[32:47]
 // Cr += -Ai*Bi
/*  mfmaIndex:39  */
/* localReadsVacancy: latencyLeft 13 */
v_mfma_f32_32x32x2f32 v[96+0:111+0], v[vgprValuB_X2_I0+2+0+0+1], v[vgprG2LA+8+0], v[96:111]
 // Ci += Ar*Bi
/*  mfmaIndex:40  */
/* localReadsVacancy: latencyLeft 13 */
v_add_f32 v188, -v[vgprG2LA+10+0+1], 0             // Ai=-Ai
v_mfma_f32_32x32x2f32 v[16+0:31+0], v[vgprValuB_X2_I0+0+0+0], v[vgprG2LA+10+0], v[16:31]
 // Cr += Ar*Br
/*  mfmaIndex:41  */
/* localReadsVacancy: latencyLeft 13 */
v_mfma_f32_32x32x2f32 v[80+0:95+0], v[vgprValuB_X2_I0+0+0+0], v[vgprG2LA+10+0+1], v[80:95]
 // Ci += Ai*Br
/*  mfmaIndex:42  */
/* localReadsVacancy: latencyLeft 13 */
v_mfma_f32_32x32x2f32 v[16+0:31+0], v[vgprValuB_X2_I0+0+0+0+1], v188, v[16:31]
 // Cr += -Ai*Bi
/*  mfmaIndex:43  */
/* localReadsVacancy: latencyLeft 13 */
v_mfma_f32_32x32x2f32 v[80+0:95+0], v[vgprValuB_X2_I0+0+0+0+1], v[vgprG2LA+10+0], v[80:95]
 // Ci += Ar*Bi
/*  mfmaIndex:44  */
/* localReadsVacancy: latencyLeft 13 */
v_mfma_f32_32x32x2f32 v[48+0:63+0], v[vgprValuB_X2_I0+2+0+0], v[vgprG2LA+10+0], v[48:63]
 // Cr += Ar*Br
/*  mfmaIndex:45  */
/* localReadsVacancy: latencyLeft 13 */
/* 1 LDS buffer: read-sync-write */
s_waitcnt lgkmcnt(0)                               // 
s_barrier                                          // 
v_mfma_f32_32x32x2f32 v[112+0:127+0], v[vgprValuB_X2_I0+2+0+0], v[vgprG2LA+10+0+1], v[112:127]
 // Ci += Ai*Br
/*  mfmaIndex:46  */
/* localReadsVacancy: latencyLeft 3 */
s_setprio 3                                        // store optimization
/* sched write - iter 2 writesPerItem=1 */
s_waitcnt vmcnt(0)                                 // lgkmcnt=-1 vmcnt=0wait for global read before writing to local
_ds_store_b128 v[vgprLocalWriteAddrB], v[vgprG2LB+0:vgprG2LB+0+3] offset:0 // lwoB_0_0_0_0 = (0*LSCB) + (0*LSPB)(*MT1J+PAD) = 0
v_mfma_f32_32x32x2f32 v[48+0:63+0], v[vgprValuB_X2_I0+2+0+0+1], v188, v[48:63]
 // Cr += -Ai*Bi
/*  mfmaIndex:47  */

/* local write swap offsets a */

/* local write swap offsets b */

/* local read swap offsets a */

/* local read swap offsets b */

/* local read init pointers a */

/* local read init pointers b */

/* localReadInitPointers */
v_mfma_f32_32x32x2f32 v[112+0:127+0], v[vgprValuB_X2_I0+2+0+0+1], v[vgprG2LA+10+0], v[112:127]
 // Ci += Ar*Bi
/* numPrefetchIter=0 */
/* dataAtIterA=1 numReadsIterA=3 skipReadsIterA=1 readsPerIterA=1 */
/* dataAtIterB=1 numReadsIterB=3 skipReadsIterB=1 readsPerIterB=2 */


/* iter 3 */

/*  grEndMfmaIndex:3, lwStartMfmaIndex:46, lwEndMfmaIndex:47  */
/*  numMfmaForLR:1, barrierMfmaIndex:62, LocalWritePerMfma:0.165 */
/*  mfmaIndex:48  */
v_add_f32 v188, -v[vgprG2LA+12+0+1], 0             // Ai=-Ai
v_mfma_f32_32x32x2f32 v[0+0:15+0], v[vgprValuB_X3_I0+0+0+0], v[vgprG2LA+12+0], v[0:15]
 // Cr += Ar*Br
/*  mfmaIndex:49  */
v_mfma_f32_32x32x2f32 v[64+0:79+0], v[vgprValuB_X3_I0+0+0+0], v[vgprG2LA+12+0+1], v[64:79]
 // Ci += Ai*Br
/*  mfmaIndex:50  */
v_mfma_f32_32x32x2f32 v[0+0:15+0], v[vgprValuB_X3_I0+0+0+0+1], v188, v[0:15]
 // Cr += -Ai*Bi
/*  mfmaIndex:51  */
v_mfma_f32_32x32x2f32 v[64+0:79+0], v[vgprValuB_X3_I0+0+0+0+1], v[vgprG2LA+12+0], v[64:79]
 // Ci += Ar*Bi
/*  mfmaIndex:52  */
v_mfma_f32_32x32x2f32 v[32+0:47+0], v[vgprValuB_X3_I0+2+0+0], v[vgprG2LA+12+0], v[32:47]
 // Cr += Ar*Br
/*  mfmaIndex:53  */
v_mfma_f32_32x32x2f32 v[96+0:111+0], v[vgprValuB_X3_I0+2+0+0], v[vgprG2LA+12+0+1], v[96:111]
 // Ci += Ai*Br
/*  mfmaIndex:54  */
v_mfma_f32_32x32x2f32 v[32+0:47+0], v[vgprValuB_X3_I0+2+0+0+1], v188, v[32:47]
 // Cr += -Ai*Bi
/*  mfmaIndex:55  */
v_mfma_f32_32x32x2f32 v[96+0:111+0], v[vgprValuB_X3_I0+2+0+0+1], v[vgprG2LA+12+0], v[96:111]
 // Ci += Ar*Bi
/*  mfmaIndex:56  */
v_add_f32 v188, -v[vgprG2LA+14+0+1], 0             // Ai=-Ai
v_mfma_f32_32x32x2f32 v[16+0:31+0], v[vgprValuB_X3_I0+0+0+0], v[vgprG2LA+14+0], v[16:31]
 // Cr += Ar*Br
/*  mfmaIndex:57  */
v_mfma_f32_32x32x2f32 v[80+0:95+0], v[vgprValuB_X3_I0+0+0+0], v[vgprG2LA+14+0+1], v[80:95]
 // Ci += Ai*Br
/*  mfmaIndex:58  */
v_mfma_f32_32x32x2f32 v[16+0:31+0], v[vgprValuB_X3_I0+0+0+0+1], v188, v[16:31]
 // Cr += -Ai*Bi
/*  mfmaIndex:59  */
v_mfma_f32_32x32x2f32 v[80+0:95+0], v[vgprValuB_X3_I0+0+0+0+1], v[vgprG2LA+14+0], v[80:95]
 // Ci += Ar*Bi
/*  mfmaIndex:60  */
v_mfma_f32_32x32x2f32 v[48+0:63+0], v[vgprValuB_X3_I0+2+0+0], v[vgprG2LA+14+0], v[48:63]
 // Cr += Ar*Br
/*  mfmaIndex:61  */
v_mfma_f32_32x32x2f32 v[112+0:127+0], v[vgprValuB_X3_I0+2+0+0], v[vgprG2LA+14+0+1], v[112:127]
 // Ci += Ai*Br
s_setprio 0                                        // store optimization
/*  mfmaIndex:62  */
s_waitcnt lgkmcnt(0)                               // lgkmcnt=0 vmcnt=-13wait for local write
// Skip force waitcnt0
s_barrier //
v_mfma_f32_32x32x2f32 v[48+0:63+0], v[vgprValuB_X3_I0+2+0+0+1], v188, v[48:63]
 // Cr += -Ai*Bi
/*  mfmaIndex:63  */
s_setprio 3                                        // store optimization
_ds_load_b64 v[vgprValuB_X0_I0+0:vgprValuB_X0_I0+0+1], v[vgprLocalReadAddrB] offset:0 // L -> Reg lro=0 swapByteOffset=0 ti=32 vIdx=0 rIdx=0 oIdx=0 buffer=0 iui=0
_ds_load_b64 v[vgprValuB_X0_I0+2:vgprValuB_X0_I0+2+1], v[vgprLocalReadAddrB] offset:256 // L -> Reg lro=0 swapByteOffset=0 ti=32 vIdx=1 rIdx=0 oIdx=0 buffer=0 iui=0
v_mfma_f32_32x32x2f32 v[112+0:127+0], v[vgprValuB_X3_I0+2+0+0+1], v[vgprG2LA+14+0], v[112:127]
 // Ci += Ar*Bi
s_setprio 0                                        // store optimization

label_0018: // EvenEndNoGlobalLoadLoopOrd 

label_0014:


/******************************************/
/* Opt. NoLoadLoop Without PAP - Begin                                      */
/******************************************/

s_mov_b32 s58, s[sgprBeta+0]                       // tmp = Beta[0]
s_or_b32 s58, s[sgprBeta+1], s58                   // tmp |= Beta[1] 
s_cmpk_eq_u32 s58, 0x0                             // Beta == 0
s_cbranch_scc0 OptNLL_End_19                       // Branch if Beta is not zero

s_mov_b32 s58, 1.0                                 // Real part of 1.0
s_mov_b32 s59, 0.0                                 // Imaginary part of 1.0
s_cmp_eq_u64 s[sgprAlpha:sgprAlpha+1], s[58:59]    // Alpha == 1.0 ?
s_cbranch_scc0 OptNLL_End_19                       // branch if alpha != 1

s_and_b32 s58, 255, s[sgprSizeI]                   // s58 = s[sgprSizeI] % 256
s_add_u32 s59, -0x1, s[sgprNumWorkGroups0]         // 
s_cmp_ge_u32 s[sgprWorkGroup0], s59                // wg0 >= nwg0-1 ?
s_cselect_b32 s58, s58, 0                          // set rMT0
s_cmpk_gt_u32 s58, 0x0                             // rMT0 > 0
s_cbranch_scc1 OptNLL_End_19                       // jump if edges required
s_and_b32 s58, 63, s[sgprSizeJ]                    // s58 = s[sgprSizeJ] % 64
s_add_u32 s59, -0x1, s[sgprNumWorkGroups1]         // 
s_cmp_ge_u32 s[sgprWorkGroup1], s59                // wg1 >= nwg1-1
s_cselect_b32 s58, s58, 0                          // set rMT1
s_cmpk_gt_u32 s58, 0x0                             // rMT1 > 0
s_cbranch_scc1 OptNLL_End_19                       // jump if edges required

s_and_b32 s59, 7, s[sgprSizesSum+0]                // s59 = s[sgprSizesSum+0] % 8
s_cmp_eq_u32 s59, 0x0                              // numIterL == 0
s_cbranch_scc0 OptNLL_End_19                       // skip if tail loop required

s_and_b32 s58, s[sgprOrigLoopCounter], 1           // test if OrigLoopCounter is Odd ?
s_cbranch_scc0 label_0020                          // Skip odd code if OrigLoopCounter is Even


	;; [unrolled: 1-line block ×3, first 2 shown]
/* iter 0 (last unrolled loop) */

s_waitcnt vmcnt(3)                                 // lgkmcnt=-1 vmcnt=3global read wait for DirectToVgpr

/*  grEndMfmaIndex:0, lwStartMfmaIndex:47, lwEndMfmaIndex:47  */
/*  numMfmaForLR:1, barrierMfmaIndex:62, LocalWritePerMfma:0.165 */
/*  mfmaIndex:0  */
s_waitcnt lgkmcnt(0)                               // lgkmcnt=0 vmcnt=-1wait for prior local read local write old=0, new=0 newLW=0 newLR=0
v_add_f32 v188, -v[vgprG2LA+0+0+1], 0              // Ai=-Ai
v_mfma_f32_32x32x2f32 v[0+0:15+0], v[vgprValuB_X0_I0+0+0+0], v[vgprG2LA+0+0], v[0:15]
 // Cr += Ar*Br
/*  mfmaIndex:1  */
_ds_load_b64 v[vgprValuB_X1_I0+0:vgprValuB_X1_I0+0+1], v[vgprLocalReadAddrB] offset:1024 // L -> Reg lro=128 swapByteOffset=0 ti=32 vIdx=0 rIdx=0 oIdx=0 buffer=1 iui=0
_ds_load_b64 v[vgprValuB_X1_I0+2:vgprValuB_X1_I0+2+1], v[vgprLocalReadAddrB] offset:1280 // L -> Reg lro=128 swapByteOffset=0 ti=32 vIdx=1 rIdx=0 oIdx=0 buffer=1 iui=0
/* localReadsVacancy: latencyLeft 9 */
_ds_load_b64 v[vgprValuB_X2_I0+0:vgprValuB_X2_I0+0+1], v[vgprLocalReadAddrB] offset:2048 // L -> Reg lro=256 swapByteOffset=0 ti=32 vIdx=0 rIdx=0 oIdx=0 buffer=2 iui=0
_ds_load_b64 v[vgprValuB_X2_I0+2:vgprValuB_X2_I0+2+1], v[vgprLocalReadAddrB] offset:2304 // L -> Reg lro=256 swapByteOffset=0 ti=32 vIdx=1 rIdx=0 oIdx=0 buffer=2 iui=0
_ds_load_b64 v[vgprValuB_X3_I0+0:vgprValuB_X3_I0+0+1], v[vgprLocalReadAddrB] offset:3072 // L -> Reg lro=384 swapByteOffset=0 ti=32 vIdx=0 rIdx=0 oIdx=0 buffer=3 iui=0
_ds_load_b64 v[vgprValuB_X3_I0+2:vgprValuB_X3_I0+2+1], v[vgprLocalReadAddrB] offset:3328 // L -> Reg lro=384 swapByteOffset=0 ti=32 vIdx=1 rIdx=0 oIdx=0 buffer=3 iui=0
v_mfma_f32_32x32x2f32 v[64+0:79+0], v[vgprValuB_X0_I0+0+0+0], v[vgprG2LA+0+0+1], v[64:79]
 // Ci += Ai*Br
/*  mfmaIndex:2  */
/* localReadsVacancy: latencyLeft 13 */
v_mfma_f32_32x32x2f32 v[0+0:15+0], v[vgprValuB_X0_I0+0+0+0+1], v188, v[0:15]
 // Cr += -Ai*Bi
/*  mfmaIndex:3  */
/* localReadsVacancy: latencyLeft 13 */
v_mfma_f32_32x32x2f32 v[64+0:79+0], v[vgprValuB_X0_I0+0+0+0+1], v[vgprG2LA+0+0], v[64:79]
 // Ci += Ar*Bi
/*  mfmaIndex:4  */
/* localReadsVacancy: latencyLeft 13 */
v_mfma_f32_32x32x2f32 v[32+0:47+0], v[vgprValuB_X0_I0+2+0+0], v[vgprG2LA+0+0], v[32:47]
 // Cr += Ar*Br
/*  mfmaIndex:5  */
/* localReadsVacancy: latencyLeft 13 */
v_mfma_f32_32x32x2f32 v[96+0:111+0], v[vgprValuB_X0_I0+2+0+0], v[vgprG2LA+0+0+1], v[96:111]
 // Ci += Ai*Br
/*  mfmaIndex:6  */
/* localReadsVacancy: latencyLeft 13 */
v_mfma_f32_32x32x2f32 v[32+0:47+0], v[vgprValuB_X0_I0+2+0+0+1], v188, v[32:47]
 // Cr += -Ai*Bi
/*  mfmaIndex:7  */
/* localReadsVacancy: latencyLeft 13 */
v_mfma_f32_32x32x2f32 v[96+0:111+0], v[vgprValuB_X0_I0+2+0+0+1], v[vgprG2LA+0+0], v[96:111]
 // Ci += Ar*Bi
/*  mfmaIndex:8  */
/* localReadsVacancy: latencyLeft 13 */
v_add_f32 v188, -v[vgprG2LA+2+0+1], 0              // Ai=-Ai
v_mfma_f32_32x32x2f32 v[16+0:31+0], v[vgprValuB_X0_I0+0+0+0], v[vgprG2LA+2+0], v[16:31]
 // Cr += Ar*Br
/*  mfmaIndex:9  */
/* localReadsVacancy: latencyLeft 13 */
v_mfma_f32_32x32x2f32 v[80+0:95+0], v[vgprValuB_X0_I0+0+0+0], v[vgprG2LA+2+0+1], v[80:95]
 // Ci += Ai*Br
/*  mfmaIndex:10  */
/* localReadsVacancy: latencyLeft 13 */
v_mfma_f32_32x32x2f32 v[16+0:31+0], v[vgprValuB_X0_I0+0+0+0+1], v188, v[16:31]
 // Cr += -Ai*Bi
/*  mfmaIndex:11  */
/* localReadsVacancy: latencyLeft 13 */
v_mfma_f32_32x32x2f32 v[80+0:95+0], v[vgprValuB_X0_I0+0+0+0+1], v[vgprG2LA+2+0], v[80:95]
 // Ci += Ar*Bi
/*  mfmaIndex:12  */
/* localReadsVacancy: latencyLeft 13 */
v_mfma_f32_32x32x2f32 v[48+0:63+0], v[vgprValuB_X0_I0+2+0+0], v[vgprG2LA+2+0], v[48:63]
 // Cr += Ar*Br
/*  mfmaIndex:13  */
/* localReadsVacancy: latencyLeft 13 */
v_mfma_f32_32x32x2f32 v[112+0:127+0], v[vgprValuB_X0_I0+2+0+0], v[vgprG2LA+2+0+1], v[112:127]
 // Ci += Ai*Br
/*  mfmaIndex:14  */
/* localReadsVacancy: latencyLeft 13 */
v_mfma_f32_32x32x2f32 v[48+0:63+0], v[vgprValuB_X0_I0+2+0+0+1], v188, v[48:63]
 // Cr += -Ai*Bi
/*  mfmaIndex:15  */
/* localReadsVacancy: latencyLeft 13 */
v_mfma_f32_32x32x2f32 v[112+0:127+0], v[vgprValuB_X0_I0+2+0+0+1], v[vgprG2LA+2+0], v[112:127]
 // Ci += Ar*Bi
/* numPrefetchIter=0 */
/* dataAtIterA=-1 numReadsIterA=1 skipReadsIterA=1 readsPerIterA=1 */
/* dataAtIterB=-1 numReadsIterB=1 skipReadsIterB=1 readsPerIterB=2 */


/* iter 1 (last unrolled loop) */

s_waitcnt vmcnt(2)                                 // lgkmcnt=-1 vmcnt=2global read wait for DirectToVgpr

/*  grEndMfmaIndex:0, lwStartMfmaIndex:47, lwEndMfmaIndex:47  */
/*  numMfmaForLR:1, barrierMfmaIndex:62, LocalWritePerMfma:0.165 */
/*  mfmaIndex:16  */
/* localReadsVacancy: latencyLeft 13 */
s_waitcnt lgkmcnt(4)                               // lgkmcnt=0 vmcnt=-1wait for prior local read local write old=2, new=2 newLW=0 newLR=0
v_add_f32 v188, -v[vgprG2LA+4+0+1], 0              // Ai=-Ai
v_mfma_f32_32x32x2f32 v[0+0:15+0], v[vgprValuB_X1_I0+0+0+0], v[vgprG2LA+4+0], v[0:15]
 // Cr += Ar*Br
/*  mfmaIndex:17  */
/* localReadsVacancy: latencyLeft 13 */
v_mfma_f32_32x32x2f32 v[64+0:79+0], v[vgprValuB_X1_I0+0+0+0], v[vgprG2LA+4+0+1], v[64:79]
 // Ci += Ai*Br
/*  mfmaIndex:18  */
/* localReadsVacancy: latencyLeft 13 */
v_mfma_f32_32x32x2f32 v[0+0:15+0], v[vgprValuB_X1_I0+0+0+0+1], v188, v[0:15]
 // Cr += -Ai*Bi
/*  mfmaIndex:19  */
/* localReadsVacancy: latencyLeft 13 */
v_mfma_f32_32x32x2f32 v[64+0:79+0], v[vgprValuB_X1_I0+0+0+0+1], v[vgprG2LA+4+0], v[64:79]
 // Ci += Ar*Bi
/*  mfmaIndex:20  */
/* localReadsVacancy: latencyLeft 13 */
v_mfma_f32_32x32x2f32 v[32+0:47+0], v[vgprValuB_X1_I0+2+0+0], v[vgprG2LA+4+0], v[32:47]
 // Cr += Ar*Br
/*  mfmaIndex:21  */
/* localReadsVacancy: latencyLeft 13 */
v_mfma_f32_32x32x2f32 v[96+0:111+0], v[vgprValuB_X1_I0+2+0+0], v[vgprG2LA+4+0+1], v[96:111]
 // Ci += Ai*Br
/*  mfmaIndex:22  */
/* localReadsVacancy: latencyLeft 13 */
v_mfma_f32_32x32x2f32 v[32+0:47+0], v[vgprValuB_X1_I0+2+0+0+1], v188, v[32:47]
 // Cr += -Ai*Bi
/*  mfmaIndex:23  */
/* localReadsVacancy: latencyLeft 13 */
v_mfma_f32_32x32x2f32 v[96+0:111+0], v[vgprValuB_X1_I0+2+0+0+1], v[vgprG2LA+4+0], v[96:111]
 // Ci += Ar*Bi
/*  mfmaIndex:24  */
/* localReadsVacancy: latencyLeft 13 */
v_add_f32 v188, -v[vgprG2LA+6+0+1], 0              // Ai=-Ai
v_mfma_f32_32x32x2f32 v[16+0:31+0], v[vgprValuB_X1_I0+0+0+0], v[vgprG2LA+6+0], v[16:31]
 // Cr += Ar*Br
/*  mfmaIndex:25  */
/* localReadsVacancy: latencyLeft 13 */
v_mfma_f32_32x32x2f32 v[80+0:95+0], v[vgprValuB_X1_I0+0+0+0], v[vgprG2LA+6+0+1], v[80:95]
 // Ci += Ai*Br
/*  mfmaIndex:26  */
/* localReadsVacancy: latencyLeft 13 */
v_mfma_f32_32x32x2f32 v[16+0:31+0], v[vgprValuB_X1_I0+0+0+0+1], v188, v[16:31]
 // Cr += -Ai*Bi
/*  mfmaIndex:27  */
/* localReadsVacancy: latencyLeft 13 */
v_mfma_f32_32x32x2f32 v[80+0:95+0], v[vgprValuB_X1_I0+0+0+0+1], v[vgprG2LA+6+0], v[80:95]
 // Ci += Ar*Bi
/*  mfmaIndex:28  */
/* localReadsVacancy: latencyLeft 13 */
v_mfma_f32_32x32x2f32 v[48+0:63+0], v[vgprValuB_X1_I0+2+0+0], v[vgprG2LA+6+0], v[48:63]
 // Cr += Ar*Br
/*  mfmaIndex:29  */
/* localReadsVacancy: latencyLeft 13 */
v_mfma_f32_32x32x2f32 v[112+0:127+0], v[vgprValuB_X1_I0+2+0+0], v[vgprG2LA+6+0+1], v[112:127]
 // Ci += Ai*Br
/*  mfmaIndex:30  */
/* localReadsVacancy: latencyLeft 13 */
v_mfma_f32_32x32x2f32 v[48+0:63+0], v[vgprValuB_X1_I0+2+0+0+1], v188, v[48:63]
 // Cr += -Ai*Bi
/*  mfmaIndex:31  */
/* localReadsVacancy: latencyLeft 13 */
v_mfma_f32_32x32x2f32 v[112+0:127+0], v[vgprValuB_X1_I0+2+0+0+1], v[vgprG2LA+6+0], v[112:127]
 // Ci += Ar*Bi
/* numPrefetchIter=0 */
/* dataAtIterA=0 numReadsIterA=2 skipReadsIterA=1 readsPerIterA=1 */
/* dataAtIterB=0 numReadsIterB=2 skipReadsIterB=1 readsPerIterB=2 */


/* iter 2 (last unrolled loop) */

s_waitcnt vmcnt(1)                                 // lgkmcnt=-1 vmcnt=1global read wait for DirectToVgpr

/*  grEndMfmaIndex:0, lwStartMfmaIndex:47, lwEndMfmaIndex:47  */
/*  numMfmaForLR:1, barrierMfmaIndex:62, LocalWritePerMfma:0.165 */
/*  mfmaIndex:32  */
/* localReadsVacancy: latencyLeft 13 */
s_waitcnt lgkmcnt(0)                               // lgkmcnt=0 vmcnt=-1wait for prior local read local write old=0, new=0 newLW=0 newLR=0
v_add_f32 v188, -v[vgprG2LA+8+0+1], 0              // Ai=-Ai
v_mfma_f32_32x32x2f32 v[0+0:15+0], v[vgprValuB_X2_I0+0+0+0], v[vgprG2LA+8+0], v[0:15]
 // Cr += Ar*Br
/*  mfmaIndex:33  */
/* localReadsVacancy: latencyLeft 13 */
v_mfma_f32_32x32x2f32 v[64+0:79+0], v[vgprValuB_X2_I0+0+0+0], v[vgprG2LA+8+0+1], v[64:79]
 // Ci += Ai*Br
/*  mfmaIndex:34  */
/* localReadsVacancy: latencyLeft 13 */
v_mfma_f32_32x32x2f32 v[0+0:15+0], v[vgprValuB_X2_I0+0+0+0+1], v188, v[0:15]
 // Cr += -Ai*Bi
/*  mfmaIndex:35  */
/* localReadsVacancy: latencyLeft 13 */
v_mfma_f32_32x32x2f32 v[64+0:79+0], v[vgprValuB_X2_I0+0+0+0+1], v[vgprG2LA+8+0], v[64:79]
 // Ci += Ar*Bi
/*  mfmaIndex:36  */
/* localReadsVacancy: latencyLeft 13 */
v_mfma_f32_32x32x2f32 v[32+0:47+0], v[vgprValuB_X2_I0+2+0+0], v[vgprG2LA+8+0], v[32:47]
 // Cr += Ar*Br
/*  mfmaIndex:37  */
/* localReadsVacancy: latencyLeft 13 */
v_mfma_f32_32x32x2f32 v[96+0:111+0], v[vgprValuB_X2_I0+2+0+0], v[vgprG2LA+8+0+1], v[96:111]
 // Ci += Ai*Br
/*  mfmaIndex:38  */
/* localReadsVacancy: latencyLeft 13 */
v_mfma_f32_32x32x2f32 v[32+0:47+0], v[vgprValuB_X2_I0+2+0+0+1], v188, v[32:47]
 // Cr += -Ai*Bi
/*  mfmaIndex:39  */
/* localReadsVacancy: latencyLeft 13 */
v_mfma_f32_32x32x2f32 v[96+0:111+0], v[vgprValuB_X2_I0+2+0+0+1], v[vgprG2LA+8+0], v[96:111]
 // Ci += Ar*Bi
/*  mfmaIndex:40  */
/* localReadsVacancy: latencyLeft 13 */
v_add_f32 v188, -v[vgprG2LA+10+0+1], 0             // Ai=-Ai
v_mfma_f32_32x32x2f32 v[16+0:31+0], v[vgprValuB_X2_I0+0+0+0], v[vgprG2LA+10+0], v[16:31]
 // Cr += Ar*Br
/*  mfmaIndex:41  */
/* localReadsVacancy: latencyLeft 13 */
v_mfma_f32_32x32x2f32 v[80+0:95+0], v[vgprValuB_X2_I0+0+0+0], v[vgprG2LA+10+0+1], v[80:95]
 // Ci += Ai*Br
/*  mfmaIndex:42  */
/* localReadsVacancy: latencyLeft 13 */
v_mfma_f32_32x32x2f32 v[16+0:31+0], v[vgprValuB_X2_I0+0+0+0+1], v188, v[16:31]
 // Cr += -Ai*Bi
/*  mfmaIndex:43  */
/* localReadsVacancy: latencyLeft 13 */
v_mfma_f32_32x32x2f32 v[80+0:95+0], v[vgprValuB_X2_I0+0+0+0+1], v[vgprG2LA+10+0], v[80:95]
 // Ci += Ar*Bi
/*  mfmaIndex:44  */
/* localReadsVacancy: latencyLeft 13 */
v_mfma_f32_32x32x2f32 v[48+0:63+0], v[vgprValuB_X2_I0+2+0+0], v[vgprG2LA+10+0], v[48:63]
 // Cr += Ar*Br
/*  mfmaIndex:45  */
/* localReadsVacancy: latencyLeft 13 */
v_mfma_f32_32x32x2f32 v[112+0:127+0], v[vgprValuB_X2_I0+2+0+0], v[vgprG2LA+10+0+1], v[112:127]
 // Ci += Ai*Br
/*  mfmaIndex:46  */
/* localReadsVacancy: latencyLeft 13 */
/* 1 LDS buffer: read-sync-write */
s_waitcnt lgkmcnt(0)                               // 
s_barrier                                          // 
v_mfma_f32_32x32x2f32 v[48+0:63+0], v[vgprValuB_X2_I0+2+0+0+1], v188, v[48:63]
 // Cr += -Ai*Bi
/*  mfmaIndex:47  */
/* localReadsVacancy: latencyLeft 13 */
s_setprio 3                                        // store optimization
v_mfma_f32_32x32x2f32 v[112+0:127+0], v[vgprValuB_X2_I0+2+0+0+1], v[vgprG2LA+10+0], v[112:127]
 // Ci += Ar*Bi
/* numPrefetchIter=0 */
/* dataAtIterA=1 numReadsIterA=3 skipReadsIterA=1 readsPerIterA=1 */
/* dataAtIterB=1 numReadsIterB=3 skipReadsIterB=1 readsPerIterB=2 */


/* iter 3 (last unrolled loop) */

s_waitcnt vmcnt(0)                                 // lgkmcnt=-1 vmcnt=0global read wait for DirectToVgpr

/*  grEndMfmaIndex:0, lwStartMfmaIndex:47, lwEndMfmaIndex:47  */
/*  numMfmaForLR:1, barrierMfmaIndex:62, LocalWritePerMfma:0.165 */
/*  mfmaIndex:48  */
v_add_f32 v188, -v[vgprG2LA+12+0+1], 0             // Ai=-Ai
v_mfma_f32_32x32x2f32 v[0+0:15+0], v[vgprValuB_X3_I0+0+0+0], v[vgprG2LA+12+0], v[0:15]
 // Cr += Ar*Br
/*  mfmaIndex:49  */
v_mfma_f32_32x32x2f32 v[64+0:79+0], v[vgprValuB_X3_I0+0+0+0], v[vgprG2LA+12+0+1], v[64:79]
 // Ci += Ai*Br
/*  mfmaIndex:50  */
v_mfma_f32_32x32x2f32 v[0+0:15+0], v[vgprValuB_X3_I0+0+0+0+1], v188, v[0:15]
 // Cr += -Ai*Bi
/*  mfmaIndex:51  */
v_mfma_f32_32x32x2f32 v[64+0:79+0], v[vgprValuB_X3_I0+0+0+0+1], v[vgprG2LA+12+0], v[64:79]
 // Ci += Ar*Bi
/*  mfmaIndex:52  */
v_mfma_f32_32x32x2f32 v[32+0:47+0], v[vgprValuB_X3_I0+2+0+0], v[vgprG2LA+12+0], v[32:47]
 // Cr += Ar*Br
/*  mfmaIndex:53  */
v_mfma_f32_32x32x2f32 v[96+0:111+0], v[vgprValuB_X3_I0+2+0+0], v[vgprG2LA+12+0+1], v[96:111]
 // Ci += Ai*Br
/*  mfmaIndex:54  */
v_mfma_f32_32x32x2f32 v[32+0:47+0], v[vgprValuB_X3_I0+2+0+0+1], v188, v[32:47]
 // Cr += -Ai*Bi
/*  mfmaIndex:55  */
v_mfma_f32_32x32x2f32 v[96+0:111+0], v[vgprValuB_X3_I0+2+0+0+1], v[vgprG2LA+12+0], v[96:111]
 // Ci += Ar*Bi
/*  mfmaIndex:56  */
v_add_f32 v188, -v[vgprG2LA+14+0+1], 0             // Ai=-Ai
v_mfma_f32_32x32x2f32 v[16+0:31+0], v[vgprValuB_X3_I0+0+0+0], v[vgprG2LA+14+0], v[16:31]
 // Cr += Ar*Br
/*  mfmaIndex:57  */
v_mfma_f32_32x32x2f32 v[80+0:95+0], v[vgprValuB_X3_I0+0+0+0], v[vgprG2LA+14+0+1], v[80:95]
 // Ci += Ai*Br
/*  mfmaIndex:58  */
v_mfma_f32_32x32x2f32 v[16+0:31+0], v[vgprValuB_X3_I0+0+0+0+1], v188, v[16:31]
 // Cr += -Ai*Bi
/*  mfmaIndex:59  */
v_mfma_f32_32x32x2f32 v[80+0:95+0], v[vgprValuB_X3_I0+0+0+0+1], v[vgprG2LA+14+0], v[80:95]
 // Ci += Ar*Bi
/*  mfmaIndex:60  */
v_mfma_f32_32x32x2f32 v[48+0:63+0], v[vgprValuB_X3_I0+2+0+0], v[vgprG2LA+14+0], v[48:63]
 // Cr += Ar*Br
/*  mfmaIndex:61  */
v_mfma_f32_32x32x2f32 v[112+0:127+0], v[vgprValuB_X3_I0+2+0+0], v[vgprG2LA+14+0+1], v[112:127]
 // Ci += Ai*Br
s_setprio 0                                        // store optimization
/*  mfmaIndex:62  */
v_mfma_f32_32x32x2f32 v[48+0:63+0], v[vgprValuB_X3_I0+2+0+0+1], v188, v[48:63]
 // Cr += -Ai*Bi
/*  mfmaIndex:63  */
s_setprio 3                                        // store optimization
v_mfma_f32_32x32x2f32 v[112+0:127+0], v[vgprValuB_X3_I0+2+0+0+1], v[vgprG2LA+14+0], v[112:127]
 // Ci += Ar*Bi

s_branch label_0021                                // Skip even code
label_0020: // EvenStartNoLoadLoopOpt 


	;; [unrolled: 1-line block ×3, first 2 shown]
/* iter 0 (last unrolled loop) */

s_waitcnt vmcnt(3)                                 // lgkmcnt=-1 vmcnt=3global read wait for DirectToVgpr

/*  grEndMfmaIndex:0, lwStartMfmaIndex:47, lwEndMfmaIndex:47  */
/*  numMfmaForLR:1, barrierMfmaIndex:62, LocalWritePerMfma:0.165 */
/*  mfmaIndex:0  */
s_waitcnt lgkmcnt(0)                               // lgkmcnt=0 vmcnt=-1wait for prior local read local write old=0, new=0 newLW=0 newLR=0
v_add_f32 v188, -v[vgprG2LA+16+0+1], 0             // Ai=-Ai
v_mfma_f32_32x32x2f32 v[0+0:15+0], v[vgprValuB_X0_I0+0+0+0], v[vgprG2LA+16+0], v[0:15]
 // Cr += Ar*Br
/*  mfmaIndex:1  */
_ds_load_b64 v[vgprValuB_X1_I0+0:vgprValuB_X1_I0+0+1], v[vgprLocalReadAddrB] offset:1024 // L -> Reg lro=128 swapByteOffset=0 ti=32 vIdx=0 rIdx=0 oIdx=0 buffer=1 iui=0
_ds_load_b64 v[vgprValuB_X1_I0+2:vgprValuB_X1_I0+2+1], v[vgprLocalReadAddrB] offset:1280 // L -> Reg lro=128 swapByteOffset=0 ti=32 vIdx=1 rIdx=0 oIdx=0 buffer=1 iui=0
/* localReadsVacancy: latencyLeft 9 */
_ds_load_b64 v[vgprValuB_X2_I0+0:vgprValuB_X2_I0+0+1], v[vgprLocalReadAddrB] offset:2048 // L -> Reg lro=256 swapByteOffset=0 ti=32 vIdx=0 rIdx=0 oIdx=0 buffer=2 iui=0
_ds_load_b64 v[vgprValuB_X2_I0+2:vgprValuB_X2_I0+2+1], v[vgprLocalReadAddrB] offset:2304 // L -> Reg lro=256 swapByteOffset=0 ti=32 vIdx=1 rIdx=0 oIdx=0 buffer=2 iui=0
_ds_load_b64 v[vgprValuB_X3_I0+0:vgprValuB_X3_I0+0+1], v[vgprLocalReadAddrB] offset:3072 // L -> Reg lro=384 swapByteOffset=0 ti=32 vIdx=0 rIdx=0 oIdx=0 buffer=3 iui=0
_ds_load_b64 v[vgprValuB_X3_I0+2:vgprValuB_X3_I0+2+1], v[vgprLocalReadAddrB] offset:3328 // L -> Reg lro=384 swapByteOffset=0 ti=32 vIdx=1 rIdx=0 oIdx=0 buffer=3 iui=0
v_mfma_f32_32x32x2f32 v[64+0:79+0], v[vgprValuB_X0_I0+0+0+0], v[vgprG2LA+16+0+1], v[64:79]
 // Ci += Ai*Br
/*  mfmaIndex:2  */
/* localReadsVacancy: latencyLeft 13 */
v_mfma_f32_32x32x2f32 v[0+0:15+0], v[vgprValuB_X0_I0+0+0+0+1], v188, v[0:15]
 // Cr += -Ai*Bi
/*  mfmaIndex:3  */
/* localReadsVacancy: latencyLeft 13 */
v_mfma_f32_32x32x2f32 v[64+0:79+0], v[vgprValuB_X0_I0+0+0+0+1], v[vgprG2LA+16+0], v[64:79]
 // Ci += Ar*Bi
/*  mfmaIndex:4  */
/* localReadsVacancy: latencyLeft 13 */
v_mfma_f32_32x32x2f32 v[32+0:47+0], v[vgprValuB_X0_I0+2+0+0], v[vgprG2LA+16+0], v[32:47]
 // Cr += Ar*Br
/*  mfmaIndex:5  */
/* localReadsVacancy: latencyLeft 13 */
v_mfma_f32_32x32x2f32 v[96+0:111+0], v[vgprValuB_X0_I0+2+0+0], v[vgprG2LA+16+0+1], v[96:111]
 // Ci += Ai*Br
/*  mfmaIndex:6  */
/* localReadsVacancy: latencyLeft 13 */
v_mfma_f32_32x32x2f32 v[32+0:47+0], v[vgprValuB_X0_I0+2+0+0+1], v188, v[32:47]
 // Cr += -Ai*Bi
/*  mfmaIndex:7  */
/* localReadsVacancy: latencyLeft 13 */
v_mfma_f32_32x32x2f32 v[96+0:111+0], v[vgprValuB_X0_I0+2+0+0+1], v[vgprG2LA+16+0], v[96:111]
 // Ci += Ar*Bi
/*  mfmaIndex:8  */
/* localReadsVacancy: latencyLeft 13 */
v_add_f32 v188, -v[vgprG2LA+18+0+1], 0             // Ai=-Ai
v_mfma_f32_32x32x2f32 v[16+0:31+0], v[vgprValuB_X0_I0+0+0+0], v[vgprG2LA+18+0], v[16:31]
 // Cr += Ar*Br
/*  mfmaIndex:9  */
/* localReadsVacancy: latencyLeft 13 */
v_mfma_f32_32x32x2f32 v[80+0:95+0], v[vgprValuB_X0_I0+0+0+0], v[vgprG2LA+18+0+1], v[80:95]
 // Ci += Ai*Br
/*  mfmaIndex:10  */
/* localReadsVacancy: latencyLeft 13 */
v_mfma_f32_32x32x2f32 v[16+0:31+0], v[vgprValuB_X0_I0+0+0+0+1], v188, v[16:31]
 // Cr += -Ai*Bi
/*  mfmaIndex:11  */
/* localReadsVacancy: latencyLeft 13 */
v_mfma_f32_32x32x2f32 v[80+0:95+0], v[vgprValuB_X0_I0+0+0+0+1], v[vgprG2LA+18+0], v[80:95]
 // Ci += Ar*Bi
/*  mfmaIndex:12  */
/* localReadsVacancy: latencyLeft 13 */
v_mfma_f32_32x32x2f32 v[48+0:63+0], v[vgprValuB_X0_I0+2+0+0], v[vgprG2LA+18+0], v[48:63]
 // Cr += Ar*Br
/*  mfmaIndex:13  */
/* localReadsVacancy: latencyLeft 13 */
v_mfma_f32_32x32x2f32 v[112+0:127+0], v[vgprValuB_X0_I0+2+0+0], v[vgprG2LA+18+0+1], v[112:127]
 // Ci += Ai*Br
/*  mfmaIndex:14  */
/* localReadsVacancy: latencyLeft 13 */
v_mfma_f32_32x32x2f32 v[48+0:63+0], v[vgprValuB_X0_I0+2+0+0+1], v188, v[48:63]
 // Cr += -Ai*Bi
/*  mfmaIndex:15  */
/* localReadsVacancy: latencyLeft 13 */
v_mfma_f32_32x32x2f32 v[112+0:127+0], v[vgprValuB_X0_I0+2+0+0+1], v[vgprG2LA+18+0], v[112:127]
 // Ci += Ar*Bi
/* numPrefetchIter=0 */
/* dataAtIterA=-1 numReadsIterA=1 skipReadsIterA=1 readsPerIterA=1 */
/* dataAtIterB=-1 numReadsIterB=1 skipReadsIterB=1 readsPerIterB=2 */


/* iter 1 (last unrolled loop) */

s_waitcnt vmcnt(2)                                 // lgkmcnt=-1 vmcnt=2global read wait for DirectToVgpr

/*  grEndMfmaIndex:0, lwStartMfmaIndex:47, lwEndMfmaIndex:47  */
/*  numMfmaForLR:1, barrierMfmaIndex:62, LocalWritePerMfma:0.165 */
/*  mfmaIndex:16  */
/* localReadsVacancy: latencyLeft 13 */
s_waitcnt lgkmcnt(4)                               // lgkmcnt=0 vmcnt=-1wait for prior local read local write old=2, new=2 newLW=0 newLR=0
v_add_f32 v188, -v[vgprG2LA+20+0+1], 0             // Ai=-Ai
v_mfma_f32_32x32x2f32 v[0+0:15+0], v[vgprValuB_X1_I0+0+0+0], v[vgprG2LA+20+0], v[0:15]
 // Cr += Ar*Br
/*  mfmaIndex:17  */
/* localReadsVacancy: latencyLeft 13 */
v_mfma_f32_32x32x2f32 v[64+0:79+0], v[vgprValuB_X1_I0+0+0+0], v[vgprG2LA+20+0+1], v[64:79]
 // Ci += Ai*Br
/*  mfmaIndex:18  */
/* localReadsVacancy: latencyLeft 13 */
v_mfma_f32_32x32x2f32 v[0+0:15+0], v[vgprValuB_X1_I0+0+0+0+1], v188, v[0:15]
 // Cr += -Ai*Bi
/*  mfmaIndex:19  */
/* localReadsVacancy: latencyLeft 13 */
v_mfma_f32_32x32x2f32 v[64+0:79+0], v[vgprValuB_X1_I0+0+0+0+1], v[vgprG2LA+20+0], v[64:79]
 // Ci += Ar*Bi
/*  mfmaIndex:20  */
/* localReadsVacancy: latencyLeft 13 */
v_mfma_f32_32x32x2f32 v[32+0:47+0], v[vgprValuB_X1_I0+2+0+0], v[vgprG2LA+20+0], v[32:47]
 // Cr += Ar*Br
/*  mfmaIndex:21  */
/* localReadsVacancy: latencyLeft 13 */
v_mfma_f32_32x32x2f32 v[96+0:111+0], v[vgprValuB_X1_I0+2+0+0], v[vgprG2LA+20+0+1], v[96:111]
 // Ci += Ai*Br
/*  mfmaIndex:22  */
/* localReadsVacancy: latencyLeft 13 */
v_mfma_f32_32x32x2f32 v[32+0:47+0], v[vgprValuB_X1_I0+2+0+0+1], v188, v[32:47]
 // Cr += -Ai*Bi
/*  mfmaIndex:23  */
/* localReadsVacancy: latencyLeft 13 */
v_mfma_f32_32x32x2f32 v[96+0:111+0], v[vgprValuB_X1_I0+2+0+0+1], v[vgprG2LA+20+0], v[96:111]
 // Ci += Ar*Bi
/*  mfmaIndex:24  */
/* localReadsVacancy: latencyLeft 13 */
v_add_f32 v188, -v[vgprG2LA+22+0+1], 0             // Ai=-Ai
v_mfma_f32_32x32x2f32 v[16+0:31+0], v[vgprValuB_X1_I0+0+0+0], v[vgprG2LA+22+0], v[16:31]
 // Cr += Ar*Br
/*  mfmaIndex:25  */
/* localReadsVacancy: latencyLeft 13 */
v_mfma_f32_32x32x2f32 v[80+0:95+0], v[vgprValuB_X1_I0+0+0+0], v[vgprG2LA+22+0+1], v[80:95]
 // Ci += Ai*Br
/*  mfmaIndex:26  */
/* localReadsVacancy: latencyLeft 13 */
v_mfma_f32_32x32x2f32 v[16+0:31+0], v[vgprValuB_X1_I0+0+0+0+1], v188, v[16:31]
 // Cr += -Ai*Bi
/*  mfmaIndex:27  */
/* localReadsVacancy: latencyLeft 13 */
v_mfma_f32_32x32x2f32 v[80+0:95+0], v[vgprValuB_X1_I0+0+0+0+1], v[vgprG2LA+22+0], v[80:95]
 // Ci += Ar*Bi
/*  mfmaIndex:28  */
/* localReadsVacancy: latencyLeft 13 */
v_mfma_f32_32x32x2f32 v[48+0:63+0], v[vgprValuB_X1_I0+2+0+0], v[vgprG2LA+22+0], v[48:63]
 // Cr += Ar*Br
/*  mfmaIndex:29  */
/* localReadsVacancy: latencyLeft 13 */
v_mfma_f32_32x32x2f32 v[112+0:127+0], v[vgprValuB_X1_I0+2+0+0], v[vgprG2LA+22+0+1], v[112:127]
 // Ci += Ai*Br
/*  mfmaIndex:30  */
/* localReadsVacancy: latencyLeft 13 */
v_mfma_f32_32x32x2f32 v[48+0:63+0], v[vgprValuB_X1_I0+2+0+0+1], v188, v[48:63]
 // Cr += -Ai*Bi
/*  mfmaIndex:31  */
/* localReadsVacancy: latencyLeft 13 */
v_mfma_f32_32x32x2f32 v[112+0:127+0], v[vgprValuB_X1_I0+2+0+0+1], v[vgprG2LA+22+0], v[112:127]
 // Ci += Ar*Bi
/* numPrefetchIter=0 */
/* dataAtIterA=0 numReadsIterA=2 skipReadsIterA=1 readsPerIterA=1 */
/* dataAtIterB=0 numReadsIterB=2 skipReadsIterB=1 readsPerIterB=2 */


/* iter 2 (last unrolled loop) */

s_waitcnt vmcnt(1)                                 // lgkmcnt=-1 vmcnt=1global read wait for DirectToVgpr

/*  grEndMfmaIndex:0, lwStartMfmaIndex:47, lwEndMfmaIndex:47  */
/*  numMfmaForLR:1, barrierMfmaIndex:62, LocalWritePerMfma:0.165 */
/*  mfmaIndex:32  */
/* localReadsVacancy: latencyLeft 13 */
s_waitcnt lgkmcnt(0)                               // lgkmcnt=0 vmcnt=-1wait for prior local read local write old=0, new=0 newLW=0 newLR=0
v_add_f32 v188, -v[vgprG2LA+24+0+1], 0             // Ai=-Ai
v_mfma_f32_32x32x2f32 v[0+0:15+0], v[vgprValuB_X2_I0+0+0+0], v[vgprG2LA+24+0], v[0:15]
 // Cr += Ar*Br
/*  mfmaIndex:33  */
/* localReadsVacancy: latencyLeft 13 */
v_mfma_f32_32x32x2f32 v[64+0:79+0], v[vgprValuB_X2_I0+0+0+0], v[vgprG2LA+24+0+1], v[64:79]
 // Ci += Ai*Br
/*  mfmaIndex:34  */
/* localReadsVacancy: latencyLeft 13 */
v_mfma_f32_32x32x2f32 v[0+0:15+0], v[vgprValuB_X2_I0+0+0+0+1], v188, v[0:15]
 // Cr += -Ai*Bi
/*  mfmaIndex:35  */
/* localReadsVacancy: latencyLeft 13 */
v_mfma_f32_32x32x2f32 v[64+0:79+0], v[vgprValuB_X2_I0+0+0+0+1], v[vgprG2LA+24+0], v[64:79]
 // Ci += Ar*Bi
/*  mfmaIndex:36  */
/* localReadsVacancy: latencyLeft 13 */
v_mfma_f32_32x32x2f32 v[32+0:47+0], v[vgprValuB_X2_I0+2+0+0], v[vgprG2LA+24+0], v[32:47]
 // Cr += Ar*Br
/*  mfmaIndex:37  */
/* localReadsVacancy: latencyLeft 13 */
v_mfma_f32_32x32x2f32 v[96+0:111+0], v[vgprValuB_X2_I0+2+0+0], v[vgprG2LA+24+0+1], v[96:111]
 // Ci += Ai*Br
/*  mfmaIndex:38  */
/* localReadsVacancy: latencyLeft 13 */
v_mfma_f32_32x32x2f32 v[32+0:47+0], v[vgprValuB_X2_I0+2+0+0+1], v188, v[32:47]
 // Cr += -Ai*Bi
/*  mfmaIndex:39  */
/* localReadsVacancy: latencyLeft 13 */
v_mfma_f32_32x32x2f32 v[96+0:111+0], v[vgprValuB_X2_I0+2+0+0+1], v[vgprG2LA+24+0], v[96:111]
 // Ci += Ar*Bi
/*  mfmaIndex:40  */
/* localReadsVacancy: latencyLeft 13 */
v_add_f32 v188, -v[vgprG2LA+26+0+1], 0             // Ai=-Ai
v_mfma_f32_32x32x2f32 v[16+0:31+0], v[vgprValuB_X2_I0+0+0+0], v[vgprG2LA+26+0], v[16:31]
 // Cr += Ar*Br
/*  mfmaIndex:41  */
/* localReadsVacancy: latencyLeft 13 */
v_mfma_f32_32x32x2f32 v[80+0:95+0], v[vgprValuB_X2_I0+0+0+0], v[vgprG2LA+26+0+1], v[80:95]
 // Ci += Ai*Br
/*  mfmaIndex:42  */
/* localReadsVacancy: latencyLeft 13 */
v_mfma_f32_32x32x2f32 v[16+0:31+0], v[vgprValuB_X2_I0+0+0+0+1], v188, v[16:31]
 // Cr += -Ai*Bi
/*  mfmaIndex:43  */
/* localReadsVacancy: latencyLeft 13 */
v_mfma_f32_32x32x2f32 v[80+0:95+0], v[vgprValuB_X2_I0+0+0+0+1], v[vgprG2LA+26+0], v[80:95]
 // Ci += Ar*Bi
/*  mfmaIndex:44  */
/* localReadsVacancy: latencyLeft 13 */
v_mfma_f32_32x32x2f32 v[48+0:63+0], v[vgprValuB_X2_I0+2+0+0], v[vgprG2LA+26+0], v[48:63]
 // Cr += Ar*Br
/*  mfmaIndex:45  */
/* localReadsVacancy: latencyLeft 13 */
v_mfma_f32_32x32x2f32 v[112+0:127+0], v[vgprValuB_X2_I0+2+0+0], v[vgprG2LA+26+0+1], v[112:127]
 // Ci += Ai*Br
/*  mfmaIndex:46  */
/* localReadsVacancy: latencyLeft 13 */
/* 1 LDS buffer: read-sync-write */
s_waitcnt lgkmcnt(0)                               // 
s_barrier                                          // 
v_mfma_f32_32x32x2f32 v[48+0:63+0], v[vgprValuB_X2_I0+2+0+0+1], v188, v[48:63]
 // Cr += -Ai*Bi
/*  mfmaIndex:47  */
/* localReadsVacancy: latencyLeft 13 */
s_setprio 3                                        // store optimization
v_mfma_f32_32x32x2f32 v[112+0:127+0], v[vgprValuB_X2_I0+2+0+0+1], v[vgprG2LA+26+0], v[112:127]
 // Ci += Ar*Bi
/* numPrefetchIter=0 */
/* dataAtIterA=1 numReadsIterA=3 skipReadsIterA=1 readsPerIterA=1 */
/* dataAtIterB=1 numReadsIterB=3 skipReadsIterB=1 readsPerIterB=2 */


/* iter 3 (last unrolled loop) */

s_waitcnt vmcnt(0)                                 // lgkmcnt=-1 vmcnt=0global read wait for DirectToVgpr

/*  grEndMfmaIndex:0, lwStartMfmaIndex:47, lwEndMfmaIndex:47  */
/*  numMfmaForLR:1, barrierMfmaIndex:62, LocalWritePerMfma:0.165 */
/*  mfmaIndex:48  */
v_add_f32 v188, -v[vgprG2LA+28+0+1], 0             // Ai=-Ai
v_mfma_f32_32x32x2f32 v[0+0:15+0], v[vgprValuB_X3_I0+0+0+0], v[vgprG2LA+28+0], v[0:15]
 // Cr += Ar*Br
/*  mfmaIndex:49  */
v_mfma_f32_32x32x2f32 v[64+0:79+0], v[vgprValuB_X3_I0+0+0+0], v[vgprG2LA+28+0+1], v[64:79]
 // Ci += Ai*Br
/*  mfmaIndex:50  */
v_mfma_f32_32x32x2f32 v[0+0:15+0], v[vgprValuB_X3_I0+0+0+0+1], v188, v[0:15]
 // Cr += -Ai*Bi
/*  mfmaIndex:51  */
v_mfma_f32_32x32x2f32 v[64+0:79+0], v[vgprValuB_X3_I0+0+0+0+1], v[vgprG2LA+28+0], v[64:79]
 // Ci += Ar*Bi
/*  mfmaIndex:52  */
v_mfma_f32_32x32x2f32 v[32+0:47+0], v[vgprValuB_X3_I0+2+0+0], v[vgprG2LA+28+0], v[32:47]
 // Cr += Ar*Br
/*  mfmaIndex:53  */
v_mfma_f32_32x32x2f32 v[96+0:111+0], v[vgprValuB_X3_I0+2+0+0], v[vgprG2LA+28+0+1], v[96:111]
 // Ci += Ai*Br
/*  mfmaIndex:54  */
v_mfma_f32_32x32x2f32 v[32+0:47+0], v[vgprValuB_X3_I0+2+0+0+1], v188, v[32:47]
 // Cr += -Ai*Bi
/*  mfmaIndex:55  */
v_mfma_f32_32x32x2f32 v[96+0:111+0], v[vgprValuB_X3_I0+2+0+0+1], v[vgprG2LA+28+0], v[96:111]
 // Ci += Ar*Bi
/*  mfmaIndex:56  */
v_add_f32 v188, -v[vgprG2LA+30+0+1], 0             // Ai=-Ai
v_mfma_f32_32x32x2f32 v[16+0:31+0], v[vgprValuB_X3_I0+0+0+0], v[vgprG2LA+30+0], v[16:31]
 // Cr += Ar*Br
/*  mfmaIndex:57  */
v_mfma_f32_32x32x2f32 v[80+0:95+0], v[vgprValuB_X3_I0+0+0+0], v[vgprG2LA+30+0+1], v[80:95]
 // Ci += Ai*Br
/*  mfmaIndex:58  */
v_mfma_f32_32x32x2f32 v[16+0:31+0], v[vgprValuB_X3_I0+0+0+0+1], v188, v[16:31]
 // Cr += -Ai*Bi
/*  mfmaIndex:59  */
v_mfma_f32_32x32x2f32 v[80+0:95+0], v[vgprValuB_X3_I0+0+0+0+1], v[vgprG2LA+30+0], v[80:95]
 // Ci += Ar*Bi
/*  mfmaIndex:60  */
v_mfma_f32_32x32x2f32 v[48+0:63+0], v[vgprValuB_X3_I0+2+0+0], v[vgprG2LA+30+0], v[48:63]
 // Cr += Ar*Br
/*  mfmaIndex:61  */
v_mfma_f32_32x32x2f32 v[112+0:127+0], v[vgprValuB_X3_I0+2+0+0], v[vgprG2LA+30+0+1], v[112:127]
 // Ci += Ai*Br
s_setprio 0                                        // store optimization
/*  mfmaIndex:62  */
v_mfma_f32_32x32x2f32 v[48+0:63+0], v[vgprValuB_X3_I0+2+0+0+1], v188, v[48:63]
 // Cr += -Ai*Bi
/*  mfmaIndex:63  */
s_setprio 3                                        // store optimization
v_mfma_f32_32x32x2f32 v[112+0:127+0], v[vgprValuB_X3_I0+2+0+0+1], v[vgprG2LA+30+0], v[112:127]
 // Ci += Ar*Bi

label_0021: // EvenEndNoLoadLoopOpt 

/* Stores for OptNLL */
Summation_End_OptNLL_22:
s_setprio 0                                        // optimization store
/* endSummation: add vgpr [128...186) to pool */
.set NumFullBlocks, UNDEF
.set WgmRemainder1, UNDEF
.set MagicNumberWgmRemainder1, UNDEF

/* Mapping of Acc register -> C Vgpr register */

/* Multiply MI out register with Alpha -> C Vgpr register */
/* computeStoreVgprs */
v_lshrrev_b32 v132, 6, v[vgprSerial]               // v132 = v[vgprSerial] / 64
v_and_b32 v129, 63, v[vgprSerial]                  // v129 = v[vgprSerial] % 64
v_lshrrev_b32 v129, 5, v129                        // v129 = v129 / 32
v_lshlrev_b32 v129, 0x2, v129                      // thread0 * continuous_output
v_lshrrev_b32 v133, 2, v132                        // v133 = v132 / 4
v_mul_lo_u32 v133, 0x20, v133                      // wave coordination offset 1
_v_add_lshl_u32 v129, v133, v129, 0                // coordination 1 = vwb *(wave_id1 + tid1)
v_mul_lo_u32 v130, v129, s[sgprStrideC1J]          //  offset 1
v_mul_lo_u32 v131, v129, s[sgprStrideD1J]          //  offset 1
v_and_b32 v133, 3, v132                            // v133 = v132 % 4
v_mul_lo_u32 v133, 0x20, v133                      // wave coordination offset 0
v_and_b32 v128, 31, v[vgprSerial]                  // v128 = v[vgprSerial] % 32
_v_add_lshl_u32 v128, v133, v128, 1                // coordination 0 = vwa *(wave_id0 + tid0)
s_mul_i32 s55, 256, s[sgprWorkGroup0]              // wgp0 * MT0
_v_add_u32 v128, s55, v128                         // coord 0 = (tid0/MI_m)*4 + waveG0*MIB_m + MT0*SG0
s_mul_i32 s55, 64, s[sgprWorkGroup1]               // wgp1 * MT1
_v_add_u32 v129, s55, v129                         // coord 1 = (tid0%MI_m) + waveG1*MIB_n + MT1*SG1
GW_B0_E0_25:

/* edge=0, allocate 2 sgpr. perBatchTmpS=2 perBatchMaskS=0 perElementMaskS=0 elementsPerBatch=29 */
/* optSingleColVgpr=1 optSharedColVgpr=0 optSGPRUsage=BufferLoad_Mask optSrdIncForRow=1 */
s_sleep 3 // optimization: sync and wait
s_barrier

/******************************************/
/* Global Write Batch #0 (d1,d0,vc1,vc0) = */
/*    (0,0,0,0:vw2); (0,0,1,0:vw2); (0,0,2,0:vw2); (0,0,3,0:vw2); (1,0,0,0:vw2); (1,0,1,0:vw2); (1,0,2,0:vw2); (1,0,3,0:vw2); (2,0,0,0:vw2); (2,0,1,0:vw2); (2,0,2,0:vw2); (2,0,3,0:vw2); (3,0,0,0:vw2); (3,0,1,0:vw2); (3,0,2,0:vw2); (3,0,3,0:vw2); (4,0,0,0:vw2); (4,0,1,0:vw2); (4,0,2,0:vw2); (4,0,3,0:vw2); (5,0,0,0:vw2); (5,0,1,0:vw2); (5,0,2,0:vw2); (5,0,3,0:vw2); (6,0,0,0:vw2); (6,0,1,0:vw2); (6,0,2,0:vw2); (6,0,3,0:vw2); (7,0,0,0:vw2) */
/******************************************/

/* calc coords, apply mask, and issue loads (if necessary) */
/* (d1,vc1,d0,vc0)=(0,0,0,0) */
/* (d1,vc1,d0,vc0)=(0,1,0,0) */
	;; [unrolled: 1-line block ×29, first 2 shown]
_v_add_lshl_u32 v134, v131, v128, 0x3              // optSingleColVgpr scaleToBpe: sharedAddrVgpr <- cinRowPtr + coord0, scaled by BPE. BSHERE:coord0=128, coord0Vgpr=128
v_mov_b32 v[vgprValuC+136], v[vgprValuC+0] // copy MI out reg to vreg[0]
v_mov_b32 v[vgprValuC+137], v[vgprValuC+64] // copy MI out reg to vreg[1]
	;; [unrolled: 1-line block ×116, first 2 shown]

/* apply mask, calc new C and issue writes */
_buffer_store_b128 v[136:139], v134, s[sgprSrdD:sgprSrdD+3], 0, offen, offset:0,  glc slc // store D
s_lshl_b32  s56, s[sgprStrideD1J], 3               // incToNextRow: Scale by BPE
s_add_u32  s[sgprSrdD+0], s[sgprSrdD+0], s56       // incToNextRow: gra SRD += inc(lower)
s_addc_u32  s[sgprSrdD+1], s[sgprSrdD+1], 0        // incToNextRow: gra SRD += inc(upper)
_buffer_store_b128 v[140:143], v134, s[sgprSrdD:sgprSrdD+3], 0, offen, offset:0,  glc slc // store D
s_lshl_b32  s56, s[sgprStrideD1J], 3               // incToNextRow: Scale by BPE
s_add_u32  s[sgprSrdD+0], s[sgprSrdD+0], s56       // incToNextRow: gra SRD += inc(lower)
s_addc_u32  s[sgprSrdD+1], s[sgprSrdD+1], 0        // incToNextRow: gra SRD += inc(upper)
_buffer_store_b128 v[144:147], v134, s[sgprSrdD:sgprSrdD+3], 0, offen, offset:0,  glc slc // store D
s_lshl_b32  s56, s[sgprStrideD1J], 3               // incToNextRow: Scale by BPE
s_add_u32  s[sgprSrdD+0], s[sgprSrdD+0], s56       // incToNextRow: gra SRD += inc(lower)
s_addc_u32  s[sgprSrdD+1], s[sgprSrdD+1], 0        // incToNextRow: gra SRD += inc(upper)
_buffer_store_b128 v[148:151], v134, s[sgprSrdD:sgprSrdD+3], 0, offen, offset:0,  glc slc // store D
s_mul_i32 s56, s[sgprStrideD1J], 40                // scale StrideD *= numRows(5) * bpe
s_add_u32  s[sgprSrdD+0], s[sgprSrdD+0], s56       // incToNextRow: gra SRD += inc(lower)
s_addc_u32  s[sgprSrdD+1], s[sgprSrdD+1], 0        // incToNextRow: gra SRD += inc(upper)
_buffer_store_b128 v[152:155], v134, s[sgprSrdD:sgprSrdD+3], 0, offen, offset:0,  glc slc // store D
s_lshl_b32  s56, s[sgprStrideD1J], 3               // incToNextRow: Scale by BPE
s_add_u32  s[sgprSrdD+0], s[sgprSrdD+0], s56       // incToNextRow: gra SRD += inc(lower)
s_addc_u32  s[sgprSrdD+1], s[sgprSrdD+1], 0        // incToNextRow: gra SRD += inc(upper)
_buffer_store_b128 v[156:159], v134, s[sgprSrdD:sgprSrdD+3], 0, offen, offset:0,  glc slc // store D
s_lshl_b32  s56, s[sgprStrideD1J], 3               // incToNextRow: Scale by BPE
s_add_u32  s[sgprSrdD+0], s[sgprSrdD+0], s56       // incToNextRow: gra SRD += inc(lower)
s_addc_u32  s[sgprSrdD+1], s[sgprSrdD+1], 0        // incToNextRow: gra SRD += inc(upper)
_buffer_store_b128 v[160:163], v134, s[sgprSrdD:sgprSrdD+3], 0, offen, offset:0,  glc slc // store D
s_lshl_b32  s56, s[sgprStrideD1J], 3               // incToNextRow: Scale by BPE
s_add_u32  s[sgprSrdD+0], s[sgprSrdD+0], s56       // incToNextRow: gra SRD += inc(lower)
s_addc_u32  s[sgprSrdD+1], s[sgprSrdD+1], 0        // incToNextRow: gra SRD += inc(upper)
_buffer_store_b128 v[164:167], v134, s[sgprSrdD:sgprSrdD+3], 0, offen, offset:0,  glc slc // store D
s_mul_i32 s56, s[sgprStrideD1J], 40                // scale StrideD *= numRows(5) * bpe
s_add_u32  s[sgprSrdD+0], s[sgprSrdD+0], s56       // incToNextRow: gra SRD += inc(lower)
s_addc_u32  s[sgprSrdD+1], s[sgprSrdD+1], 0        // incToNextRow: gra SRD += inc(upper)
	;; [unrolled: 16-line block ×7, first 2 shown]
_buffer_store_b128 v[252:255], v134, s[sgprSrdD:sgprSrdD+3], 0, offen, offset:0,  glc slc // store D
s_nop 0                                            // 1 wait state required when next inst writes vgprs held by previous dwordx4 store inst
/* optSingleColVgpr=1 optSharedColVgpr=0 optSGPRUsage=BufferLoad_Mask optSrdIncForRow=1 */
s_sleep 3 // optimization: sync and wait
s_barrier

/******************************************/
/* Global Write Batch #1 (d1,d0,vc1,vc0) = */
/*    (7,0,1,0:vw2); (7,0,2,0:vw2); (7,0,3,0:vw2) */
/******************************************/

/* calc coords, apply mask, and issue loads (if necessary) */
/* (d1,vc1,d0,vc0)=(7,1,0,0) */
/* (d1,vc1,d0,vc0)=(7,2,0,0) */
	;; [unrolled: 1-line block ×3, first 2 shown]
v_mov_b32 v[vgprValuC+136], v[vgprValuC+45] // copy MI out reg to vreg[116]
v_mov_b32 v[vgprValuC+137], v[vgprValuC+109] // copy MI out reg to vreg[117]
	;; [unrolled: 1-line block ×12, first 2 shown]

/* apply mask, calc new C and issue writes */
s_lshl_b32  s56, s[sgprStrideD1J], 3               // incToNextRow: Scale by BPE
s_add_u32  s[sgprSrdD+0], s[sgprSrdD+0], s56       // incToNextRow: gra SRD += inc(lower)
s_addc_u32  s[sgprSrdD+1], s[sgprSrdD+1], 0        // incToNextRow: gra SRD += inc(upper)
_buffer_store_b128 v[136:139], v134, s[sgprSrdD:sgprSrdD+3], 0, offen, offset:0,  glc slc // store D
s_lshl_b32  s56, s[sgprStrideD1J], 3               // incToNextRow: Scale by BPE
s_add_u32  s[sgprSrdD+0], s[sgprSrdD+0], s56       // incToNextRow: gra SRD += inc(lower)
s_addc_u32  s[sgprSrdD+1], s[sgprSrdD+1], 0        // incToNextRow: gra SRD += inc(upper)
_buffer_store_b128 v[140:143], v134, s[sgprSrdD:sgprSrdD+3], 0, offen, offset:0,  glc slc // store D
	;; [unrolled: 4-line block ×3, first 2 shown]
s_nop 0                                            // 1 wait state required when next inst writes vgprs held by previous dwordx4 store inst
s_branch label_GW_End_27                           // jump to end
label_GW_End_27:

s_endpgm                                           // Kernel End
OptNLL_End_19:


/******************************************/
/* Ord. NoLoadLoop - Begin                                      */
/******************************************/


s_and_b32 s58, s[sgprOrigLoopCounter], 1           // test if OrigLoopCounter is Odd ?
s_cbranch_scc0 label_0032                          // Skip odd code if OrigLoopCounter is Even


	;; [unrolled: 1-line block ×3, first 2 shown]
/* iter 0 (last unrolled loop) */

s_waitcnt vmcnt(3)                                 // lgkmcnt=-1 vmcnt=3global read wait for DirectToVgpr

/*  grEndMfmaIndex:0, lwStartMfmaIndex:47, lwEndMfmaIndex:47  */
/*  numMfmaForLR:1, barrierMfmaIndex:62, LocalWritePerMfma:0.165 */
/*  mfmaIndex:0  */
s_waitcnt lgkmcnt(0)                               // lgkmcnt=0 vmcnt=-1wait for prior local read local write old=0, new=0 newLW=0 newLR=0
v_add_f32 v188, -v[vgprG2LA+0+0+1], 0              // Ai=-Ai
v_mfma_f32_32x32x2f32 v[0+0:15+0], v[vgprValuB_X0_I0+0+0+0], v[vgprG2LA+0+0], v[0:15]
 // Cr += Ar*Br
/*  mfmaIndex:1  */
_ds_load_b64 v[vgprValuB_X1_I0+0:vgprValuB_X1_I0+0+1], v[vgprLocalReadAddrB] offset:1024 // L -> Reg lro=128 swapByteOffset=0 ti=32 vIdx=0 rIdx=0 oIdx=0 buffer=1 iui=0
_ds_load_b64 v[vgprValuB_X1_I0+2:vgprValuB_X1_I0+2+1], v[vgprLocalReadAddrB] offset:1280 // L -> Reg lro=128 swapByteOffset=0 ti=32 vIdx=1 rIdx=0 oIdx=0 buffer=1 iui=0
/* localReadsVacancy: latencyLeft 9 */
_ds_load_b64 v[vgprValuB_X2_I0+0:vgprValuB_X2_I0+0+1], v[vgprLocalReadAddrB] offset:2048 // L -> Reg lro=256 swapByteOffset=0 ti=32 vIdx=0 rIdx=0 oIdx=0 buffer=2 iui=0
_ds_load_b64 v[vgprValuB_X2_I0+2:vgprValuB_X2_I0+2+1], v[vgprLocalReadAddrB] offset:2304 // L -> Reg lro=256 swapByteOffset=0 ti=32 vIdx=1 rIdx=0 oIdx=0 buffer=2 iui=0
_ds_load_b64 v[vgprValuB_X3_I0+0:vgprValuB_X3_I0+0+1], v[vgprLocalReadAddrB] offset:3072 // L -> Reg lro=384 swapByteOffset=0 ti=32 vIdx=0 rIdx=0 oIdx=0 buffer=3 iui=0
_ds_load_b64 v[vgprValuB_X3_I0+2:vgprValuB_X3_I0+2+1], v[vgprLocalReadAddrB] offset:3328 // L -> Reg lro=384 swapByteOffset=0 ti=32 vIdx=1 rIdx=0 oIdx=0 buffer=3 iui=0
v_mfma_f32_32x32x2f32 v[64+0:79+0], v[vgprValuB_X0_I0+0+0+0], v[vgprG2LA+0+0+1], v[64:79]
 // Ci += Ai*Br
/*  mfmaIndex:2  */
/* localReadsVacancy: latencyLeft 13 */
v_mfma_f32_32x32x2f32 v[0+0:15+0], v[vgprValuB_X0_I0+0+0+0+1], v188, v[0:15]
 // Cr += -Ai*Bi
/*  mfmaIndex:3  */
/* localReadsVacancy: latencyLeft 13 */
v_mfma_f32_32x32x2f32 v[64+0:79+0], v[vgprValuB_X0_I0+0+0+0+1], v[vgprG2LA+0+0], v[64:79]
 // Ci += Ar*Bi
/*  mfmaIndex:4  */
/* localReadsVacancy: latencyLeft 13 */
v_mfma_f32_32x32x2f32 v[32+0:47+0], v[vgprValuB_X0_I0+2+0+0], v[vgprG2LA+0+0], v[32:47]
 // Cr += Ar*Br
/*  mfmaIndex:5  */
/* localReadsVacancy: latencyLeft 13 */
v_mfma_f32_32x32x2f32 v[96+0:111+0], v[vgprValuB_X0_I0+2+0+0], v[vgprG2LA+0+0+1], v[96:111]
 // Ci += Ai*Br
/*  mfmaIndex:6  */
/* localReadsVacancy: latencyLeft 13 */
v_mfma_f32_32x32x2f32 v[32+0:47+0], v[vgprValuB_X0_I0+2+0+0+1], v188, v[32:47]
 // Cr += -Ai*Bi
/*  mfmaIndex:7  */
/* localReadsVacancy: latencyLeft 13 */
v_mfma_f32_32x32x2f32 v[96+0:111+0], v[vgprValuB_X0_I0+2+0+0+1], v[vgprG2LA+0+0], v[96:111]
 // Ci += Ar*Bi
/*  mfmaIndex:8  */
/* localReadsVacancy: latencyLeft 13 */
v_add_f32 v188, -v[vgprG2LA+2+0+1], 0              // Ai=-Ai
v_mfma_f32_32x32x2f32 v[16+0:31+0], v[vgprValuB_X0_I0+0+0+0], v[vgprG2LA+2+0], v[16:31]
 // Cr += Ar*Br
/*  mfmaIndex:9  */
/* localReadsVacancy: latencyLeft 13 */
v_mfma_f32_32x32x2f32 v[80+0:95+0], v[vgprValuB_X0_I0+0+0+0], v[vgprG2LA+2+0+1], v[80:95]
 // Ci += Ai*Br
/*  mfmaIndex:10  */
/* localReadsVacancy: latencyLeft 13 */
v_mfma_f32_32x32x2f32 v[16+0:31+0], v[vgprValuB_X0_I0+0+0+0+1], v188, v[16:31]
 // Cr += -Ai*Bi
/*  mfmaIndex:11  */
/* localReadsVacancy: latencyLeft 13 */
v_mfma_f32_32x32x2f32 v[80+0:95+0], v[vgprValuB_X0_I0+0+0+0+1], v[vgprG2LA+2+0], v[80:95]
 // Ci += Ar*Bi
/*  mfmaIndex:12  */
/* localReadsVacancy: latencyLeft 13 */
v_mfma_f32_32x32x2f32 v[48+0:63+0], v[vgprValuB_X0_I0+2+0+0], v[vgprG2LA+2+0], v[48:63]
 // Cr += Ar*Br
/*  mfmaIndex:13  */
/* localReadsVacancy: latencyLeft 13 */
v_mfma_f32_32x32x2f32 v[112+0:127+0], v[vgprValuB_X0_I0+2+0+0], v[vgprG2LA+2+0+1], v[112:127]
 // Ci += Ai*Br
/*  mfmaIndex:14  */
/* localReadsVacancy: latencyLeft 13 */
v_mfma_f32_32x32x2f32 v[48+0:63+0], v[vgprValuB_X0_I0+2+0+0+1], v188, v[48:63]
 // Cr += -Ai*Bi
/*  mfmaIndex:15  */
/* localReadsVacancy: latencyLeft 13 */
v_mfma_f32_32x32x2f32 v[112+0:127+0], v[vgprValuB_X0_I0+2+0+0+1], v[vgprG2LA+2+0], v[112:127]
 // Ci += Ar*Bi
/* numPrefetchIter=0 */
/* dataAtIterA=-1 numReadsIterA=1 skipReadsIterA=1 readsPerIterA=1 */
/* dataAtIterB=-1 numReadsIterB=1 skipReadsIterB=1 readsPerIterB=2 */


/* iter 1 (last unrolled loop) */

s_waitcnt vmcnt(2)                                 // lgkmcnt=-1 vmcnt=2global read wait for DirectToVgpr

/*  grEndMfmaIndex:0, lwStartMfmaIndex:47, lwEndMfmaIndex:47  */
/*  numMfmaForLR:1, barrierMfmaIndex:62, LocalWritePerMfma:0.165 */
/*  mfmaIndex:16  */
/* localReadsVacancy: latencyLeft 13 */
s_waitcnt lgkmcnt(4)                               // lgkmcnt=0 vmcnt=-1wait for prior local read local write old=2, new=2 newLW=0 newLR=0
v_add_f32 v188, -v[vgprG2LA+4+0+1], 0              // Ai=-Ai
v_mfma_f32_32x32x2f32 v[0+0:15+0], v[vgprValuB_X1_I0+0+0+0], v[vgprG2LA+4+0], v[0:15]
 // Cr += Ar*Br
/*  mfmaIndex:17  */
/* localReadsVacancy: latencyLeft 13 */
v_mfma_f32_32x32x2f32 v[64+0:79+0], v[vgprValuB_X1_I0+0+0+0], v[vgprG2LA+4+0+1], v[64:79]
 // Ci += Ai*Br
/*  mfmaIndex:18  */
/* localReadsVacancy: latencyLeft 13 */
v_mfma_f32_32x32x2f32 v[0+0:15+0], v[vgprValuB_X1_I0+0+0+0+1], v188, v[0:15]
 // Cr += -Ai*Bi
/*  mfmaIndex:19  */
/* localReadsVacancy: latencyLeft 13 */
v_mfma_f32_32x32x2f32 v[64+0:79+0], v[vgprValuB_X1_I0+0+0+0+1], v[vgprG2LA+4+0], v[64:79]
 // Ci += Ar*Bi
/*  mfmaIndex:20  */
/* localReadsVacancy: latencyLeft 13 */
v_mfma_f32_32x32x2f32 v[32+0:47+0], v[vgprValuB_X1_I0+2+0+0], v[vgprG2LA+4+0], v[32:47]
 // Cr += Ar*Br
/*  mfmaIndex:21  */
/* localReadsVacancy: latencyLeft 13 */
v_mfma_f32_32x32x2f32 v[96+0:111+0], v[vgprValuB_X1_I0+2+0+0], v[vgprG2LA+4+0+1], v[96:111]
 // Ci += Ai*Br
/*  mfmaIndex:22  */
/* localReadsVacancy: latencyLeft 13 */
v_mfma_f32_32x32x2f32 v[32+0:47+0], v[vgprValuB_X1_I0+2+0+0+1], v188, v[32:47]
 // Cr += -Ai*Bi
/*  mfmaIndex:23  */
/* localReadsVacancy: latencyLeft 13 */
v_mfma_f32_32x32x2f32 v[96+0:111+0], v[vgprValuB_X1_I0+2+0+0+1], v[vgprG2LA+4+0], v[96:111]
 // Ci += Ar*Bi
/*  mfmaIndex:24  */
/* localReadsVacancy: latencyLeft 13 */
v_add_f32 v188, -v[vgprG2LA+6+0+1], 0              // Ai=-Ai
v_mfma_f32_32x32x2f32 v[16+0:31+0], v[vgprValuB_X1_I0+0+0+0], v[vgprG2LA+6+0], v[16:31]
 // Cr += Ar*Br
/*  mfmaIndex:25  */
/* localReadsVacancy: latencyLeft 13 */
v_mfma_f32_32x32x2f32 v[80+0:95+0], v[vgprValuB_X1_I0+0+0+0], v[vgprG2LA+6+0+1], v[80:95]
 // Ci += Ai*Br
/*  mfmaIndex:26  */
/* localReadsVacancy: latencyLeft 13 */
v_mfma_f32_32x32x2f32 v[16+0:31+0], v[vgprValuB_X1_I0+0+0+0+1], v188, v[16:31]
 // Cr += -Ai*Bi
/*  mfmaIndex:27  */
/* localReadsVacancy: latencyLeft 13 */
v_mfma_f32_32x32x2f32 v[80+0:95+0], v[vgprValuB_X1_I0+0+0+0+1], v[vgprG2LA+6+0], v[80:95]
 // Ci += Ar*Bi
/*  mfmaIndex:28  */
/* localReadsVacancy: latencyLeft 13 */
v_mfma_f32_32x32x2f32 v[48+0:63+0], v[vgprValuB_X1_I0+2+0+0], v[vgprG2LA+6+0], v[48:63]
 // Cr += Ar*Br
/*  mfmaIndex:29  */
/* localReadsVacancy: latencyLeft 13 */
v_mfma_f32_32x32x2f32 v[112+0:127+0], v[vgprValuB_X1_I0+2+0+0], v[vgprG2LA+6+0+1], v[112:127]
 // Ci += Ai*Br
/*  mfmaIndex:30  */
/* localReadsVacancy: latencyLeft 13 */
v_mfma_f32_32x32x2f32 v[48+0:63+0], v[vgprValuB_X1_I0+2+0+0+1], v188, v[48:63]
 // Cr += -Ai*Bi
/*  mfmaIndex:31  */
/* localReadsVacancy: latencyLeft 13 */
v_mfma_f32_32x32x2f32 v[112+0:127+0], v[vgprValuB_X1_I0+2+0+0+1], v[vgprG2LA+6+0], v[112:127]
 // Ci += Ar*Bi
/* numPrefetchIter=0 */
/* dataAtIterA=0 numReadsIterA=2 skipReadsIterA=1 readsPerIterA=1 */
/* dataAtIterB=0 numReadsIterB=2 skipReadsIterB=1 readsPerIterB=2 */


/* iter 2 (last unrolled loop) */

s_waitcnt vmcnt(1)                                 // lgkmcnt=-1 vmcnt=1global read wait for DirectToVgpr

/*  grEndMfmaIndex:0, lwStartMfmaIndex:47, lwEndMfmaIndex:47  */
/*  numMfmaForLR:1, barrierMfmaIndex:62, LocalWritePerMfma:0.165 */
/*  mfmaIndex:32  */
/* localReadsVacancy: latencyLeft 13 */
s_waitcnt lgkmcnt(0)                               // lgkmcnt=0 vmcnt=-1wait for prior local read local write old=0, new=0 newLW=0 newLR=0
v_add_f32 v188, -v[vgprG2LA+8+0+1], 0              // Ai=-Ai
v_mfma_f32_32x32x2f32 v[0+0:15+0], v[vgprValuB_X2_I0+0+0+0], v[vgprG2LA+8+0], v[0:15]
 // Cr += Ar*Br
/*  mfmaIndex:33  */
/* localReadsVacancy: latencyLeft 13 */
v_mfma_f32_32x32x2f32 v[64+0:79+0], v[vgprValuB_X2_I0+0+0+0], v[vgprG2LA+8+0+1], v[64:79]
 // Ci += Ai*Br
/*  mfmaIndex:34  */
/* localReadsVacancy: latencyLeft 13 */
v_mfma_f32_32x32x2f32 v[0+0:15+0], v[vgprValuB_X2_I0+0+0+0+1], v188, v[0:15]
 // Cr += -Ai*Bi
/*  mfmaIndex:35  */
/* localReadsVacancy: latencyLeft 13 */
v_mfma_f32_32x32x2f32 v[64+0:79+0], v[vgprValuB_X2_I0+0+0+0+1], v[vgprG2LA+8+0], v[64:79]
 // Ci += Ar*Bi
/*  mfmaIndex:36  */
/* localReadsVacancy: latencyLeft 13 */
v_mfma_f32_32x32x2f32 v[32+0:47+0], v[vgprValuB_X2_I0+2+0+0], v[vgprG2LA+8+0], v[32:47]
 // Cr += Ar*Br
/*  mfmaIndex:37  */
/* localReadsVacancy: latencyLeft 13 */
v_mfma_f32_32x32x2f32 v[96+0:111+0], v[vgprValuB_X2_I0+2+0+0], v[vgprG2LA+8+0+1], v[96:111]
 // Ci += Ai*Br
/*  mfmaIndex:38  */
/* localReadsVacancy: latencyLeft 13 */
v_mfma_f32_32x32x2f32 v[32+0:47+0], v[vgprValuB_X2_I0+2+0+0+1], v188, v[32:47]
 // Cr += -Ai*Bi
/*  mfmaIndex:39  */
/* localReadsVacancy: latencyLeft 13 */
v_mfma_f32_32x32x2f32 v[96+0:111+0], v[vgprValuB_X2_I0+2+0+0+1], v[vgprG2LA+8+0], v[96:111]
 // Ci += Ar*Bi
/*  mfmaIndex:40  */
/* localReadsVacancy: latencyLeft 13 */
v_add_f32 v188, -v[vgprG2LA+10+0+1], 0             // Ai=-Ai
v_mfma_f32_32x32x2f32 v[16+0:31+0], v[vgprValuB_X2_I0+0+0+0], v[vgprG2LA+10+0], v[16:31]
 // Cr += Ar*Br
/*  mfmaIndex:41  */
/* localReadsVacancy: latencyLeft 13 */
v_mfma_f32_32x32x2f32 v[80+0:95+0], v[vgprValuB_X2_I0+0+0+0], v[vgprG2LA+10+0+1], v[80:95]
 // Ci += Ai*Br
/*  mfmaIndex:42  */
/* localReadsVacancy: latencyLeft 13 */
v_mfma_f32_32x32x2f32 v[16+0:31+0], v[vgprValuB_X2_I0+0+0+0+1], v188, v[16:31]
 // Cr += -Ai*Bi
/*  mfmaIndex:43  */
/* localReadsVacancy: latencyLeft 13 */
v_mfma_f32_32x32x2f32 v[80+0:95+0], v[vgprValuB_X2_I0+0+0+0+1], v[vgprG2LA+10+0], v[80:95]
 // Ci += Ar*Bi
/*  mfmaIndex:44  */
/* localReadsVacancy: latencyLeft 13 */
v_mfma_f32_32x32x2f32 v[48+0:63+0], v[vgprValuB_X2_I0+2+0+0], v[vgprG2LA+10+0], v[48:63]
 // Cr += Ar*Br
/*  mfmaIndex:45  */
/* localReadsVacancy: latencyLeft 13 */
v_mfma_f32_32x32x2f32 v[112+0:127+0], v[vgprValuB_X2_I0+2+0+0], v[vgprG2LA+10+0+1], v[112:127]
 // Ci += Ai*Br
/*  mfmaIndex:46  */
/* localReadsVacancy: latencyLeft 13 */
/* 1 LDS buffer: read-sync-write */
s_waitcnt lgkmcnt(0)                               // 
s_barrier                                          // 
v_mfma_f32_32x32x2f32 v[48+0:63+0], v[vgprValuB_X2_I0+2+0+0+1], v188, v[48:63]
 // Cr += -Ai*Bi
/*  mfmaIndex:47  */
/* localReadsVacancy: latencyLeft 13 */
s_setprio 3                                        // store optimization
v_mfma_f32_32x32x2f32 v[112+0:127+0], v[vgprValuB_X2_I0+2+0+0+1], v[vgprG2LA+10+0], v[112:127]
 // Ci += Ar*Bi
/* numPrefetchIter=0 */
/* dataAtIterA=1 numReadsIterA=3 skipReadsIterA=1 readsPerIterA=1 */
/* dataAtIterB=1 numReadsIterB=3 skipReadsIterB=1 readsPerIterB=2 */


/* iter 3 (last unrolled loop) */

s_waitcnt vmcnt(0)                                 // lgkmcnt=-1 vmcnt=0global read wait for DirectToVgpr

/*  grEndMfmaIndex:0, lwStartMfmaIndex:47, lwEndMfmaIndex:47  */
/*  numMfmaForLR:1, barrierMfmaIndex:62, LocalWritePerMfma:0.165 */
/*  mfmaIndex:48  */
v_add_f32 v188, -v[vgprG2LA+12+0+1], 0             // Ai=-Ai
v_mfma_f32_32x32x2f32 v[0+0:15+0], v[vgprValuB_X3_I0+0+0+0], v[vgprG2LA+12+0], v[0:15]
 // Cr += Ar*Br
/*  mfmaIndex:49  */
v_mfma_f32_32x32x2f32 v[64+0:79+0], v[vgprValuB_X3_I0+0+0+0], v[vgprG2LA+12+0+1], v[64:79]
 // Ci += Ai*Br
/*  mfmaIndex:50  */
v_mfma_f32_32x32x2f32 v[0+0:15+0], v[vgprValuB_X3_I0+0+0+0+1], v188, v[0:15]
 // Cr += -Ai*Bi
/*  mfmaIndex:51  */
v_mfma_f32_32x32x2f32 v[64+0:79+0], v[vgprValuB_X3_I0+0+0+0+1], v[vgprG2LA+12+0], v[64:79]
 // Ci += Ar*Bi
/*  mfmaIndex:52  */
v_mfma_f32_32x32x2f32 v[32+0:47+0], v[vgprValuB_X3_I0+2+0+0], v[vgprG2LA+12+0], v[32:47]
 // Cr += Ar*Br
/*  mfmaIndex:53  */
v_mfma_f32_32x32x2f32 v[96+0:111+0], v[vgprValuB_X3_I0+2+0+0], v[vgprG2LA+12+0+1], v[96:111]
 // Ci += Ai*Br
/*  mfmaIndex:54  */
v_mfma_f32_32x32x2f32 v[32+0:47+0], v[vgprValuB_X3_I0+2+0+0+1], v188, v[32:47]
 // Cr += -Ai*Bi
/*  mfmaIndex:55  */
v_mfma_f32_32x32x2f32 v[96+0:111+0], v[vgprValuB_X3_I0+2+0+0+1], v[vgprG2LA+12+0], v[96:111]
 // Ci += Ar*Bi
/*  mfmaIndex:56  */
v_add_f32 v188, -v[vgprG2LA+14+0+1], 0             // Ai=-Ai
v_mfma_f32_32x32x2f32 v[16+0:31+0], v[vgprValuB_X3_I0+0+0+0], v[vgprG2LA+14+0], v[16:31]
 // Cr += Ar*Br
/*  mfmaIndex:57  */
v_mfma_f32_32x32x2f32 v[80+0:95+0], v[vgprValuB_X3_I0+0+0+0], v[vgprG2LA+14+0+1], v[80:95]
 // Ci += Ai*Br
/*  mfmaIndex:58  */
v_mfma_f32_32x32x2f32 v[16+0:31+0], v[vgprValuB_X3_I0+0+0+0+1], v188, v[16:31]
 // Cr += -Ai*Bi
/*  mfmaIndex:59  */
v_mfma_f32_32x32x2f32 v[80+0:95+0], v[vgprValuB_X3_I0+0+0+0+1], v[vgprG2LA+14+0], v[80:95]
 // Ci += Ar*Bi
/*  mfmaIndex:60  */
v_mfma_f32_32x32x2f32 v[48+0:63+0], v[vgprValuB_X3_I0+2+0+0], v[vgprG2LA+14+0], v[48:63]
 // Cr += Ar*Br
/*  mfmaIndex:61  */
v_mfma_f32_32x32x2f32 v[112+0:127+0], v[vgprValuB_X3_I0+2+0+0], v[vgprG2LA+14+0+1], v[112:127]
 // Ci += Ai*Br
s_setprio 0                                        // store optimization
/*  mfmaIndex:62  */
v_mfma_f32_32x32x2f32 v[48+0:63+0], v[vgprValuB_X3_I0+2+0+0+1], v188, v[48:63]
 // Cr += -Ai*Bi
/*  mfmaIndex:63  */
s_setprio 3                                        // store optimization
v_mfma_f32_32x32x2f32 v[112+0:127+0], v[vgprValuB_X3_I0+2+0+0+1], v[vgprG2LA+14+0], v[112:127]
 // Ci += Ar*Bi

s_branch label_0033                                // Skip even code
label_0032: // EvenStartNoLoadLoopOrd 


	;; [unrolled: 1-line block ×3, first 2 shown]
/* iter 0 (last unrolled loop) */

s_waitcnt vmcnt(3)                                 // lgkmcnt=-1 vmcnt=3global read wait for DirectToVgpr

/*  grEndMfmaIndex:0, lwStartMfmaIndex:47, lwEndMfmaIndex:47  */
/*  numMfmaForLR:1, barrierMfmaIndex:62, LocalWritePerMfma:0.165 */
/*  mfmaIndex:0  */
s_waitcnt lgkmcnt(0)                               // lgkmcnt=0 vmcnt=-1wait for prior local read local write old=0, new=0 newLW=0 newLR=0
v_add_f32 v188, -v[vgprG2LA+16+0+1], 0             // Ai=-Ai
v_mfma_f32_32x32x2f32 v[0+0:15+0], v[vgprValuB_X0_I0+0+0+0], v[vgprG2LA+16+0], v[0:15]
 // Cr += Ar*Br
/*  mfmaIndex:1  */
_ds_load_b64 v[vgprValuB_X1_I0+0:vgprValuB_X1_I0+0+1], v[vgprLocalReadAddrB] offset:1024 // L -> Reg lro=128 swapByteOffset=0 ti=32 vIdx=0 rIdx=0 oIdx=0 buffer=1 iui=0
_ds_load_b64 v[vgprValuB_X1_I0+2:vgprValuB_X1_I0+2+1], v[vgprLocalReadAddrB] offset:1280 // L -> Reg lro=128 swapByteOffset=0 ti=32 vIdx=1 rIdx=0 oIdx=0 buffer=1 iui=0
/* localReadsVacancy: latencyLeft 9 */
_ds_load_b64 v[vgprValuB_X2_I0+0:vgprValuB_X2_I0+0+1], v[vgprLocalReadAddrB] offset:2048 // L -> Reg lro=256 swapByteOffset=0 ti=32 vIdx=0 rIdx=0 oIdx=0 buffer=2 iui=0
_ds_load_b64 v[vgprValuB_X2_I0+2:vgprValuB_X2_I0+2+1], v[vgprLocalReadAddrB] offset:2304 // L -> Reg lro=256 swapByteOffset=0 ti=32 vIdx=1 rIdx=0 oIdx=0 buffer=2 iui=0
_ds_load_b64 v[vgprValuB_X3_I0+0:vgprValuB_X3_I0+0+1], v[vgprLocalReadAddrB] offset:3072 // L -> Reg lro=384 swapByteOffset=0 ti=32 vIdx=0 rIdx=0 oIdx=0 buffer=3 iui=0
_ds_load_b64 v[vgprValuB_X3_I0+2:vgprValuB_X3_I0+2+1], v[vgprLocalReadAddrB] offset:3328 // L -> Reg lro=384 swapByteOffset=0 ti=32 vIdx=1 rIdx=0 oIdx=0 buffer=3 iui=0
v_mfma_f32_32x32x2f32 v[64+0:79+0], v[vgprValuB_X0_I0+0+0+0], v[vgprG2LA+16+0+1], v[64:79]
 // Ci += Ai*Br
/*  mfmaIndex:2  */
/* localReadsVacancy: latencyLeft 13 */
v_mfma_f32_32x32x2f32 v[0+0:15+0], v[vgprValuB_X0_I0+0+0+0+1], v188, v[0:15]
 // Cr += -Ai*Bi
/*  mfmaIndex:3  */
/* localReadsVacancy: latencyLeft 13 */
v_mfma_f32_32x32x2f32 v[64+0:79+0], v[vgprValuB_X0_I0+0+0+0+1], v[vgprG2LA+16+0], v[64:79]
 // Ci += Ar*Bi
/*  mfmaIndex:4  */
/* localReadsVacancy: latencyLeft 13 */
v_mfma_f32_32x32x2f32 v[32+0:47+0], v[vgprValuB_X0_I0+2+0+0], v[vgprG2LA+16+0], v[32:47]
 // Cr += Ar*Br
/*  mfmaIndex:5  */
/* localReadsVacancy: latencyLeft 13 */
v_mfma_f32_32x32x2f32 v[96+0:111+0], v[vgprValuB_X0_I0+2+0+0], v[vgprG2LA+16+0+1], v[96:111]
 // Ci += Ai*Br
/*  mfmaIndex:6  */
/* localReadsVacancy: latencyLeft 13 */
v_mfma_f32_32x32x2f32 v[32+0:47+0], v[vgprValuB_X0_I0+2+0+0+1], v188, v[32:47]
 // Cr += -Ai*Bi
/*  mfmaIndex:7  */
/* localReadsVacancy: latencyLeft 13 */
v_mfma_f32_32x32x2f32 v[96+0:111+0], v[vgprValuB_X0_I0+2+0+0+1], v[vgprG2LA+16+0], v[96:111]
 // Ci += Ar*Bi
/*  mfmaIndex:8  */
/* localReadsVacancy: latencyLeft 13 */
v_add_f32 v188, -v[vgprG2LA+18+0+1], 0             // Ai=-Ai
v_mfma_f32_32x32x2f32 v[16+0:31+0], v[vgprValuB_X0_I0+0+0+0], v[vgprG2LA+18+0], v[16:31]
 // Cr += Ar*Br
/*  mfmaIndex:9  */
/* localReadsVacancy: latencyLeft 13 */
v_mfma_f32_32x32x2f32 v[80+0:95+0], v[vgprValuB_X0_I0+0+0+0], v[vgprG2LA+18+0+1], v[80:95]
 // Ci += Ai*Br
/*  mfmaIndex:10  */
/* localReadsVacancy: latencyLeft 13 */
v_mfma_f32_32x32x2f32 v[16+0:31+0], v[vgprValuB_X0_I0+0+0+0+1], v188, v[16:31]
 // Cr += -Ai*Bi
/*  mfmaIndex:11  */
/* localReadsVacancy: latencyLeft 13 */
v_mfma_f32_32x32x2f32 v[80+0:95+0], v[vgprValuB_X0_I0+0+0+0+1], v[vgprG2LA+18+0], v[80:95]
 // Ci += Ar*Bi
/*  mfmaIndex:12  */
/* localReadsVacancy: latencyLeft 13 */
v_mfma_f32_32x32x2f32 v[48+0:63+0], v[vgprValuB_X0_I0+2+0+0], v[vgprG2LA+18+0], v[48:63]
 // Cr += Ar*Br
/*  mfmaIndex:13  */
/* localReadsVacancy: latencyLeft 13 */
v_mfma_f32_32x32x2f32 v[112+0:127+0], v[vgprValuB_X0_I0+2+0+0], v[vgprG2LA+18+0+1], v[112:127]
 // Ci += Ai*Br
/*  mfmaIndex:14  */
/* localReadsVacancy: latencyLeft 13 */
v_mfma_f32_32x32x2f32 v[48+0:63+0], v[vgprValuB_X0_I0+2+0+0+1], v188, v[48:63]
 // Cr += -Ai*Bi
/*  mfmaIndex:15  */
/* localReadsVacancy: latencyLeft 13 */
v_mfma_f32_32x32x2f32 v[112+0:127+0], v[vgprValuB_X0_I0+2+0+0+1], v[vgprG2LA+18+0], v[112:127]
 // Ci += Ar*Bi
/* numPrefetchIter=0 */
/* dataAtIterA=-1 numReadsIterA=1 skipReadsIterA=1 readsPerIterA=1 */
/* dataAtIterB=-1 numReadsIterB=1 skipReadsIterB=1 readsPerIterB=2 */


/* iter 1 (last unrolled loop) */

s_waitcnt vmcnt(2)                                 // lgkmcnt=-1 vmcnt=2global read wait for DirectToVgpr

/*  grEndMfmaIndex:0, lwStartMfmaIndex:47, lwEndMfmaIndex:47  */
/*  numMfmaForLR:1, barrierMfmaIndex:62, LocalWritePerMfma:0.165 */
/*  mfmaIndex:16  */
/* localReadsVacancy: latencyLeft 13 */
s_waitcnt lgkmcnt(4)                               // lgkmcnt=0 vmcnt=-1wait for prior local read local write old=2, new=2 newLW=0 newLR=0
v_add_f32 v188, -v[vgprG2LA+20+0+1], 0             // Ai=-Ai
v_mfma_f32_32x32x2f32 v[0+0:15+0], v[vgprValuB_X1_I0+0+0+0], v[vgprG2LA+20+0], v[0:15]
 // Cr += Ar*Br
/*  mfmaIndex:17  */
/* localReadsVacancy: latencyLeft 13 */
v_mfma_f32_32x32x2f32 v[64+0:79+0], v[vgprValuB_X1_I0+0+0+0], v[vgprG2LA+20+0+1], v[64:79]
 // Ci += Ai*Br
/*  mfmaIndex:18  */
/* localReadsVacancy: latencyLeft 13 */
v_mfma_f32_32x32x2f32 v[0+0:15+0], v[vgprValuB_X1_I0+0+0+0+1], v188, v[0:15]
 // Cr += -Ai*Bi
/*  mfmaIndex:19  */
/* localReadsVacancy: latencyLeft 13 */
v_mfma_f32_32x32x2f32 v[64+0:79+0], v[vgprValuB_X1_I0+0+0+0+1], v[vgprG2LA+20+0], v[64:79]
 // Ci += Ar*Bi
/*  mfmaIndex:20  */
/* localReadsVacancy: latencyLeft 13 */
v_mfma_f32_32x32x2f32 v[32+0:47+0], v[vgprValuB_X1_I0+2+0+0], v[vgprG2LA+20+0], v[32:47]
 // Cr += Ar*Br
/*  mfmaIndex:21  */
/* localReadsVacancy: latencyLeft 13 */
v_mfma_f32_32x32x2f32 v[96+0:111+0], v[vgprValuB_X1_I0+2+0+0], v[vgprG2LA+20+0+1], v[96:111]
 // Ci += Ai*Br
/*  mfmaIndex:22  */
/* localReadsVacancy: latencyLeft 13 */
v_mfma_f32_32x32x2f32 v[32+0:47+0], v[vgprValuB_X1_I0+2+0+0+1], v188, v[32:47]
 // Cr += -Ai*Bi
/*  mfmaIndex:23  */
/* localReadsVacancy: latencyLeft 13 */
v_mfma_f32_32x32x2f32 v[96+0:111+0], v[vgprValuB_X1_I0+2+0+0+1], v[vgprG2LA+20+0], v[96:111]
 // Ci += Ar*Bi
/*  mfmaIndex:24  */
/* localReadsVacancy: latencyLeft 13 */
v_add_f32 v188, -v[vgprG2LA+22+0+1], 0             // Ai=-Ai
v_mfma_f32_32x32x2f32 v[16+0:31+0], v[vgprValuB_X1_I0+0+0+0], v[vgprG2LA+22+0], v[16:31]
 // Cr += Ar*Br
/*  mfmaIndex:25  */
/* localReadsVacancy: latencyLeft 13 */
v_mfma_f32_32x32x2f32 v[80+0:95+0], v[vgprValuB_X1_I0+0+0+0], v[vgprG2LA+22+0+1], v[80:95]
 // Ci += Ai*Br
/*  mfmaIndex:26  */
/* localReadsVacancy: latencyLeft 13 */
v_mfma_f32_32x32x2f32 v[16+0:31+0], v[vgprValuB_X1_I0+0+0+0+1], v188, v[16:31]
 // Cr += -Ai*Bi
/*  mfmaIndex:27  */
/* localReadsVacancy: latencyLeft 13 */
v_mfma_f32_32x32x2f32 v[80+0:95+0], v[vgprValuB_X1_I0+0+0+0+1], v[vgprG2LA+22+0], v[80:95]
 // Ci += Ar*Bi
/*  mfmaIndex:28  */
/* localReadsVacancy: latencyLeft 13 */
v_mfma_f32_32x32x2f32 v[48+0:63+0], v[vgprValuB_X1_I0+2+0+0], v[vgprG2LA+22+0], v[48:63]
 // Cr += Ar*Br
/*  mfmaIndex:29  */
/* localReadsVacancy: latencyLeft 13 */
v_mfma_f32_32x32x2f32 v[112+0:127+0], v[vgprValuB_X1_I0+2+0+0], v[vgprG2LA+22+0+1], v[112:127]
 // Ci += Ai*Br
/*  mfmaIndex:30  */
/* localReadsVacancy: latencyLeft 13 */
v_mfma_f32_32x32x2f32 v[48+0:63+0], v[vgprValuB_X1_I0+2+0+0+1], v188, v[48:63]
 // Cr += -Ai*Bi
/*  mfmaIndex:31  */
/* localReadsVacancy: latencyLeft 13 */
v_mfma_f32_32x32x2f32 v[112+0:127+0], v[vgprValuB_X1_I0+2+0+0+1], v[vgprG2LA+22+0], v[112:127]
 // Ci += Ar*Bi
/* numPrefetchIter=0 */
/* dataAtIterA=0 numReadsIterA=2 skipReadsIterA=1 readsPerIterA=1 */
/* dataAtIterB=0 numReadsIterB=2 skipReadsIterB=1 readsPerIterB=2 */


/* iter 2 (last unrolled loop) */

s_waitcnt vmcnt(1)                                 // lgkmcnt=-1 vmcnt=1global read wait for DirectToVgpr

/*  grEndMfmaIndex:0, lwStartMfmaIndex:47, lwEndMfmaIndex:47  */
/*  numMfmaForLR:1, barrierMfmaIndex:62, LocalWritePerMfma:0.165 */
/*  mfmaIndex:32  */
/* localReadsVacancy: latencyLeft 13 */
s_waitcnt lgkmcnt(0)                               // lgkmcnt=0 vmcnt=-1wait for prior local read local write old=0, new=0 newLW=0 newLR=0
v_add_f32 v188, -v[vgprG2LA+24+0+1], 0             // Ai=-Ai
v_mfma_f32_32x32x2f32 v[0+0:15+0], v[vgprValuB_X2_I0+0+0+0], v[vgprG2LA+24+0], v[0:15]
 // Cr += Ar*Br
/*  mfmaIndex:33  */
/* localReadsVacancy: latencyLeft 13 */
v_mfma_f32_32x32x2f32 v[64+0:79+0], v[vgprValuB_X2_I0+0+0+0], v[vgprG2LA+24+0+1], v[64:79]
 // Ci += Ai*Br
/*  mfmaIndex:34  */
/* localReadsVacancy: latencyLeft 13 */
v_mfma_f32_32x32x2f32 v[0+0:15+0], v[vgprValuB_X2_I0+0+0+0+1], v188, v[0:15]
 // Cr += -Ai*Bi
/*  mfmaIndex:35  */
/* localReadsVacancy: latencyLeft 13 */
v_mfma_f32_32x32x2f32 v[64+0:79+0], v[vgprValuB_X2_I0+0+0+0+1], v[vgprG2LA+24+0], v[64:79]
 // Ci += Ar*Bi
/*  mfmaIndex:36  */
/* localReadsVacancy: latencyLeft 13 */
v_mfma_f32_32x32x2f32 v[32+0:47+0], v[vgprValuB_X2_I0+2+0+0], v[vgprG2LA+24+0], v[32:47]
 // Cr += Ar*Br
/*  mfmaIndex:37  */
/* localReadsVacancy: latencyLeft 13 */
v_mfma_f32_32x32x2f32 v[96+0:111+0], v[vgprValuB_X2_I0+2+0+0], v[vgprG2LA+24+0+1], v[96:111]
 // Ci += Ai*Br
/*  mfmaIndex:38  */
/* localReadsVacancy: latencyLeft 13 */
v_mfma_f32_32x32x2f32 v[32+0:47+0], v[vgprValuB_X2_I0+2+0+0+1], v188, v[32:47]
 // Cr += -Ai*Bi
/*  mfmaIndex:39  */
/* localReadsVacancy: latencyLeft 13 */
v_mfma_f32_32x32x2f32 v[96+0:111+0], v[vgprValuB_X2_I0+2+0+0+1], v[vgprG2LA+24+0], v[96:111]
 // Ci += Ar*Bi
/*  mfmaIndex:40  */
/* localReadsVacancy: latencyLeft 13 */
v_add_f32 v188, -v[vgprG2LA+26+0+1], 0             // Ai=-Ai
v_mfma_f32_32x32x2f32 v[16+0:31+0], v[vgprValuB_X2_I0+0+0+0], v[vgprG2LA+26+0], v[16:31]
 // Cr += Ar*Br
/*  mfmaIndex:41  */
/* localReadsVacancy: latencyLeft 13 */
v_mfma_f32_32x32x2f32 v[80+0:95+0], v[vgprValuB_X2_I0+0+0+0], v[vgprG2LA+26+0+1], v[80:95]
 // Ci += Ai*Br
/*  mfmaIndex:42  */
/* localReadsVacancy: latencyLeft 13 */
v_mfma_f32_32x32x2f32 v[16+0:31+0], v[vgprValuB_X2_I0+0+0+0+1], v188, v[16:31]
 // Cr += -Ai*Bi
/*  mfmaIndex:43  */
/* localReadsVacancy: latencyLeft 13 */
v_mfma_f32_32x32x2f32 v[80+0:95+0], v[vgprValuB_X2_I0+0+0+0+1], v[vgprG2LA+26+0], v[80:95]
 // Ci += Ar*Bi
/*  mfmaIndex:44  */
/* localReadsVacancy: latencyLeft 13 */
v_mfma_f32_32x32x2f32 v[48+0:63+0], v[vgprValuB_X2_I0+2+0+0], v[vgprG2LA+26+0], v[48:63]
 // Cr += Ar*Br
/*  mfmaIndex:45  */
/* localReadsVacancy: latencyLeft 13 */
v_mfma_f32_32x32x2f32 v[112+0:127+0], v[vgprValuB_X2_I0+2+0+0], v[vgprG2LA+26+0+1], v[112:127]
 // Ci += Ai*Br
/*  mfmaIndex:46  */
/* localReadsVacancy: latencyLeft 13 */
/* 1 LDS buffer: read-sync-write */
s_waitcnt lgkmcnt(0)                               // 
s_barrier                                          // 
v_mfma_f32_32x32x2f32 v[48+0:63+0], v[vgprValuB_X2_I0+2+0+0+1], v188, v[48:63]
 // Cr += -Ai*Bi
/*  mfmaIndex:47  */
/* localReadsVacancy: latencyLeft 13 */
s_setprio 3                                        // store optimization
v_mfma_f32_32x32x2f32 v[112+0:127+0], v[vgprValuB_X2_I0+2+0+0+1], v[vgprG2LA+26+0], v[112:127]
 // Ci += Ar*Bi
/* numPrefetchIter=0 */
/* dataAtIterA=1 numReadsIterA=3 skipReadsIterA=1 readsPerIterA=1 */
/* dataAtIterB=1 numReadsIterB=3 skipReadsIterB=1 readsPerIterB=2 */


/* iter 3 (last unrolled loop) */

s_waitcnt vmcnt(0)                                 // lgkmcnt=-1 vmcnt=0global read wait for DirectToVgpr

/*  grEndMfmaIndex:0, lwStartMfmaIndex:47, lwEndMfmaIndex:47  */
/*  numMfmaForLR:1, barrierMfmaIndex:62, LocalWritePerMfma:0.165 */
/*  mfmaIndex:48  */
v_add_f32 v188, -v[vgprG2LA+28+0+1], 0             // Ai=-Ai
v_mfma_f32_32x32x2f32 v[0+0:15+0], v[vgprValuB_X3_I0+0+0+0], v[vgprG2LA+28+0], v[0:15]
 // Cr += Ar*Br
/*  mfmaIndex:49  */
v_mfma_f32_32x32x2f32 v[64+0:79+0], v[vgprValuB_X3_I0+0+0+0], v[vgprG2LA+28+0+1], v[64:79]
 // Ci += Ai*Br
/*  mfmaIndex:50  */
v_mfma_f32_32x32x2f32 v[0+0:15+0], v[vgprValuB_X3_I0+0+0+0+1], v188, v[0:15]
 // Cr += -Ai*Bi
/*  mfmaIndex:51  */
v_mfma_f32_32x32x2f32 v[64+0:79+0], v[vgprValuB_X3_I0+0+0+0+1], v[vgprG2LA+28+0], v[64:79]
 // Ci += Ar*Bi
/*  mfmaIndex:52  */
v_mfma_f32_32x32x2f32 v[32+0:47+0], v[vgprValuB_X3_I0+2+0+0], v[vgprG2LA+28+0], v[32:47]
 // Cr += Ar*Br
/*  mfmaIndex:53  */
v_mfma_f32_32x32x2f32 v[96+0:111+0], v[vgprValuB_X3_I0+2+0+0], v[vgprG2LA+28+0+1], v[96:111]
 // Ci += Ai*Br
/*  mfmaIndex:54  */
v_mfma_f32_32x32x2f32 v[32+0:47+0], v[vgprValuB_X3_I0+2+0+0+1], v188, v[32:47]
 // Cr += -Ai*Bi
/*  mfmaIndex:55  */
v_mfma_f32_32x32x2f32 v[96+0:111+0], v[vgprValuB_X3_I0+2+0+0+1], v[vgprG2LA+28+0], v[96:111]
 // Ci += Ar*Bi
/*  mfmaIndex:56  */
v_add_f32 v188, -v[vgprG2LA+30+0+1], 0             // Ai=-Ai
v_mfma_f32_32x32x2f32 v[16+0:31+0], v[vgprValuB_X3_I0+0+0+0], v[vgprG2LA+30+0], v[16:31]
 // Cr += Ar*Br
/*  mfmaIndex:57  */
v_mfma_f32_32x32x2f32 v[80+0:95+0], v[vgprValuB_X3_I0+0+0+0], v[vgprG2LA+30+0+1], v[80:95]
 // Ci += Ai*Br
/*  mfmaIndex:58  */
v_mfma_f32_32x32x2f32 v[16+0:31+0], v[vgprValuB_X3_I0+0+0+0+1], v188, v[16:31]
 // Cr += -Ai*Bi
/*  mfmaIndex:59  */
v_mfma_f32_32x32x2f32 v[80+0:95+0], v[vgprValuB_X3_I0+0+0+0+1], v[vgprG2LA+30+0], v[80:95]
 // Ci += Ar*Bi
/*  mfmaIndex:60  */
v_mfma_f32_32x32x2f32 v[48+0:63+0], v[vgprValuB_X3_I0+2+0+0], v[vgprG2LA+30+0], v[48:63]
 // Cr += Ar*Br
/*  mfmaIndex:61  */
v_mfma_f32_32x32x2f32 v[112+0:127+0], v[vgprValuB_X3_I0+2+0+0], v[vgprG2LA+30+0+1], v[112:127]
 // Ci += Ai*Br
s_setprio 0                                        // store optimization
/*  mfmaIndex:62  */
v_mfma_f32_32x32x2f32 v[48+0:63+0], v[vgprValuB_X3_I0+2+0+0+1], v188, v[48:63]
 // Cr += -Ai*Bi
/*  mfmaIndex:63  */
s_setprio 3                                        // store optimization
v_mfma_f32_32x32x2f32 v[112+0:127+0], v[vgprValuB_X3_I0+2+0+0+1], v[vgprG2LA+30+0], v[112:127]
 // Ci += Ar*Bi

label_0033: // EvenEndNoLoadLoopOrd 

PrefetchGlobalLastIterEnd_5:


/******************************************/
/* Tail Loop                              */
/******************************************/


/* local write reset offsets a */


	;; [unrolled: 1-line block ×4, first 2 shown]
/* local write reset offsets b */


	;; [unrolled: 1-line block ×4, first 2 shown]
//numIterL = (((sizeL % LOCAL_DEPTHU) + LOCAL_SPLITU - 1) / LOCAL_SPLITU)
s_and_b32 s[sgprLoopCounterL], 7, s[sgprSizesSum+0] // s[sgprLoopCounterL] = s[sgprSizesSum+0] % 8
s_cmp_eq_u32 s[sgprLoopCounterL], 0x0              // numIterL == 0
s_cbranch_scc1 SkipTailLoopL_8                     // skip to end of tail loop b/c numIter==0
s_mov_b32 s[sgprOrigLoopCounter], 0                // repurpose to count each localRead increment


/* remove stagger offsets for tail loop */

s_mov_b32 s60, 3                                   // 
s_mul_hi_u32 s59, s60, s[sgprGlobalReadIncsA+0]    // 3 * GlobalReadIncs
s_mul_i32 s58, s60, s[sgprGlobalReadIncsA+0]       // 3 * GlobalReadIncs
s_mul_hi_u32 s61, s[sgprStaggerUIter], s[sgprGlobalReadIncsA+0] // StaggerUIter * GlobalReadIncs
s_mul_i32 s60, s[sgprStaggerUIter], s[sgprGlobalReadIncsA+0] // StaggerUIter * GlobalReadIncs
s_sub_u32 s58, s58, s60                            // start offset S in bytes
s_subb_u32 s59, s59, s61                           // start offset S in bytes
s_sub_u32 s58, s58, s[sgprWrapUA]                  // S - WrapU
s_subb_u32 s59, s59, s[sgprWrapUA+1]               // S - WrapU
s_add_u32 s[sgprSrdA+0], s[sgprSrdA+0], s58        // gra SRD += inc(lower)
s_addc_u32  s[sgprSrdA+1], s[sgprSrdA+1], s59      // gra SRD += inc(upper)
s_sub_u32 s[sgprShadowLimitA+0], s[sgprShadowLimitA+0], s58 // limit -= inc)
s_subb_u32 s[sgprShadowLimitA+1], s[sgprShadowLimitA+1], s59 // limit -= inc)
s_cmp_eq_u32 s[sgprShadowLimitA+1], 0              // are we within 2^32?
s_cselect_b32 s[sgprSrdA+2], s[sgprShadowLimitA+0], BufferLimitA // Move shadow to real if we are within 2^32

s_mov_b32 s60, 3                                   // 
s_mul_hi_u32 s59, s60, s[sgprGlobalReadIncsB+0]    // 3 * GlobalReadIncs
s_mul_i32 s58, s60, s[sgprGlobalReadIncsB+0]       // 3 * GlobalReadIncs
s_mul_hi_u32 s61, s[sgprStaggerUIter], s[sgprGlobalReadIncsB+0] // StaggerUIter * GlobalReadIncs
s_mul_i32 s60, s[sgprStaggerUIter], s[sgprGlobalReadIncsB+0] // StaggerUIter * GlobalReadIncs
s_sub_u32 s58, s58, s60                            // start offset S in bytes
s_subb_u32 s59, s59, s61                           // start offset S in bytes
s_sub_u32 s58, s58, s[sgprWrapUB]                  // S - WrapU
s_subb_u32 s59, s59, s[sgprWrapUB+1]               // S - WrapU
s_add_u32 s[sgprSrdB+0], s[sgprSrdB+0], s58        // gra SRD += inc(lower)
s_addc_u32  s[sgprSrdB+1], s[sgprSrdB+1], s59      // gra SRD += inc(upper)
s_sub_u32 s[sgprShadowLimitB+0], s[sgprShadowLimitB+0], s58 // limit -= inc)
s_subb_u32 s[sgprShadowLimitB+1], s[sgprShadowLimitB+1], s59 // limit -= inc)
s_cmp_eq_u32 s[sgprShadowLimitB+1], 0              // are we within 2^32?
s_cselect_b32 s[sgprSrdB+2], s[sgprShadowLimitB+0], BufferLimitB // Move shadow to real if we are within 2^32


/* Update M0 for DTLDS */


	;; [unrolled: 1-line block ×3, first 2 shown]
/* global read b */

/* g2l=0, load component 0 */
_buffer_load_b64 v[vgprG2LB+0+0:vgprG2LB+0+0+1], v[vgprGlobalReadOffsetB+0], s[sgprSrdB:sgprSrdB+3], 0, offen offset:0 // load one buffer value
/* g2l=0, load component 1 */
_buffer_load_b64 v[vgprG2LB+0+2:vgprG2LB+0+2+1], v[vgprGlobalReadOffsetB+0], s[sgprSrdB:sgprSrdB+3], 0, offen offset:8 // load one buffer value


/* Update M0 for DTLDS */


	;; [unrolled: 1-line block ×3, first 2 shown]
/* global read a */

/* g2l=0, load component 0 */
_buffer_load_b64 v[vgprG2LA+0+0:vgprG2LA+0+0+1], v[vgprGlobalReadOffsetA+0], s[sgprSrdA:sgprSrdA+3], 0, offen offset:0 // load one buffer value
/* g2l=0, load component 1 */
_buffer_load_b64 v[vgprG2LA+0+2:vgprG2LA+0+2+1], v[vgprGlobalReadOffsetA+0], s[sgprSrdA:sgprSrdA+3], 0, offen offset:8 // load one buffer value
	;; [unrolled: 2-line block ×8, first 2 shown]

s_waitcnt vmcnt(0)                                 // lgkmcnt=-1 vmcnt=02wait for global read

// Skip force waitcnt0
s_barrier //


/* Done global A/B reads */


	;; [unrolled: 1-line block ×4, first 2 shown]
/* local write a */


	;; [unrolled: 1-line block ×3, first 2 shown]
/* local write b */

_ds_store_b128 v[vgprLocalWriteAddrB], v[vgprG2LB+0:vgprG2LB+0+3] offset:0 // lwoB_0_0_0_0 = (0*LSCB) + (0*LSPB)(*MT1J+PAD) = 0

s_waitcnt lgkmcnt(0)                               // lgkmcnt=0 vmcnt=-15wait for local write

// Skip force waitcnt0
s_barrier //


/* local read reset offsets a */


	;; [unrolled: 1-line block ×3, first 2 shown]
/* local read reset offsets b */


	;; [unrolled: 1-line block ×3, first 2 shown]
/* local read init pointers a */


	;; [unrolled: 1-line block ×3, first 2 shown]
/* local read init pointers b */


/* localReadInitPointers */


/* tail loop: macs */

TailLoopBeginL_6:


/* tail loop unroll iter 0 */


/* local read a */


	;; [unrolled: 1-line block ×3, first 2 shown]
/* local read b */

_ds_load_b64 v[vgprValuB_X0_I0+0:vgprValuB_X0_I0+0+1], v[vgprLocalReadAddrB] offset:0 // L -> Reg lro=0 swapByteOffset=0 ti=32 vIdx=0 rIdx=0 oIdx=0 buffer=0 iui=0
_ds_load_b64 v[vgprValuB_X0_I0+2:vgprValuB_X0_I0+2+1], v[vgprLocalReadAddrB] offset:256 // L -> Reg lro=0 swapByteOffset=0 ti=32 vIdx=1 rIdx=0 oIdx=0 buffer=0 iui=0


/* local read inc a */


	;; [unrolled: 1-line block ×3, first 2 shown]
/* local read inc b */

s_mov_b32 s58, 0x400                               // inc
_v_add_co_u32 v[vgprLocalReadAddrB], vcc, s58, v[vgprLocalReadAddrB] // lrB += 1024 (LSU*(MT+PAD)*bpe)

s_waitcnt lgkmcnt(0)                               // lgkmcnt=0 vmcnt=-14wait for local read


v_add_f32 v188, -v[vgprG2LA+0+0+1], 0              // Ai=-Ai
v_mfma_f32_32x32x2f32 v[0+0:15+0], v[vgprValuB_X0_I0+0+0+0], v[vgprG2LA+0+0], v[0:15]
 // Cr += Ar*Br
v_mfma_f32_32x32x2f32 v[64+0:79+0], v[vgprValuB_X0_I0+0+0+0], v[vgprG2LA+0+0+1], v[64:79]
 // Ci += Ai*Br
v_mfma_f32_32x32x2f32 v[0+0:15+0], v[vgprValuB_X0_I0+0+0+0+1], v188, v[0:15]
 // Cr += -Ai*Bi
v_mfma_f32_32x32x2f32 v[64+0:79+0], v[vgprValuB_X0_I0+0+0+0+1], v[vgprG2LA+0+0], v[64:79]
 // Ci += Ar*Bi
v_mfma_f32_32x32x2f32 v[32+0:47+0], v[vgprValuB_X0_I0+2+0+0], v[vgprG2LA+0+0], v[32:47]
 // Cr += Ar*Br
v_mfma_f32_32x32x2f32 v[96+0:111+0], v[vgprValuB_X0_I0+2+0+0], v[vgprG2LA+0+0+1], v[96:111]
 // Ci += Ai*Br
v_mfma_f32_32x32x2f32 v[32+0:47+0], v[vgprValuB_X0_I0+2+0+0+1], v188, v[32:47]
 // Cr += -Ai*Bi
v_mfma_f32_32x32x2f32 v[96+0:111+0], v[vgprValuB_X0_I0+2+0+0+1], v[vgprG2LA+0+0], v[96:111]
 // Ci += Ar*Bi
v_add_f32 v188, -v[vgprG2LA+2+0+1], 0              // Ai=-Ai
v_mfma_f32_32x32x2f32 v[16+0:31+0], v[vgprValuB_X0_I0+0+0+0], v[vgprG2LA+2+0], v[16:31]
 // Cr += Ar*Br
v_mfma_f32_32x32x2f32 v[80+0:95+0], v[vgprValuB_X0_I0+0+0+0], v[vgprG2LA+2+0+1], v[80:95]
 // Ci += Ai*Br
v_mfma_f32_32x32x2f32 v[16+0:31+0], v[vgprValuB_X0_I0+0+0+0+1], v188, v[16:31]
 // Cr += -Ai*Bi
v_mfma_f32_32x32x2f32 v[80+0:95+0], v[vgprValuB_X0_I0+0+0+0+1], v[vgprG2LA+2+0], v[80:95]
 // Ci += Ar*Bi
v_mfma_f32_32x32x2f32 v[48+0:63+0], v[vgprValuB_X0_I0+2+0+0], v[vgprG2LA+2+0], v[48:63]
 // Cr += Ar*Br
v_mfma_f32_32x32x2f32 v[112+0:127+0], v[vgprValuB_X0_I0+2+0+0], v[vgprG2LA+2+0+1], v[112:127]
 // Ci += Ai*Br
v_mfma_f32_32x32x2f32 v[48+0:63+0], v[vgprValuB_X0_I0+2+0+0+1], v188, v[48:63]
 // Cr += -Ai*Bi
v_mfma_f32_32x32x2f32 v[112+0:127+0], v[vgprValuB_X0_I0+2+0+0+1], v[vgprG2LA+2+0], v[112:127]
 // Ci += Ar*Bi


/* closeLoop loopL finalLoop=0 tailLoop=1 */
s_sub_i32 s[sgprLoopCounterL], s[sgprLoopCounterL], 0x2 // dec counterL (tailLoop)
s_add_u32 s[sgprOrigLoopCounter], s[sgprOrigLoopCounter], 0x2 // inc counterL
s_cmp_le_i32 s[sgprLoopCounterL], 0x0              // counterL<=0
s_cbranch_scc1 TailLoopEndL_7                      // exit LoopL


/* tail loop unroll iter 1 */


/* local read a */


	;; [unrolled: 1-line block ×3, first 2 shown]
/* local read b */

_ds_load_b64 v[vgprValuB_X1_I0+0:vgprValuB_X1_I0+0+1], v[vgprLocalReadAddrB] offset:0 // L -> Reg lro=0 swapByteOffset=0 ti=32 vIdx=0 rIdx=0 oIdx=0 buffer=1 iui=0
_ds_load_b64 v[vgprValuB_X1_I0+2:vgprValuB_X1_I0+2+1], v[vgprLocalReadAddrB] offset:256 // L -> Reg lro=0 swapByteOffset=0 ti=32 vIdx=1 rIdx=0 oIdx=0 buffer=1 iui=0


/* local read inc a */


	;; [unrolled: 1-line block ×3, first 2 shown]
/* local read inc b */

s_mov_b32 s58, 0x400                               // inc
_v_add_co_u32 v[vgprLocalReadAddrB], vcc, s58, v[vgprLocalReadAddrB] // lrB += 1024 (LSU*(MT+PAD)*bpe)

s_waitcnt lgkmcnt(0)                               // lgkmcnt=0 vmcnt=-14wait for local read


v_add_f32 v188, -v[vgprG2LA+4+0+1], 0              // Ai=-Ai
v_mfma_f32_32x32x2f32 v[0+0:15+0], v[vgprValuB_X1_I0+0+0+0], v[vgprG2LA+4+0], v[0:15]
 // Cr += Ar*Br
v_mfma_f32_32x32x2f32 v[64+0:79+0], v[vgprValuB_X1_I0+0+0+0], v[vgprG2LA+4+0+1], v[64:79]
 // Ci += Ai*Br
v_mfma_f32_32x32x2f32 v[0+0:15+0], v[vgprValuB_X1_I0+0+0+0+1], v188, v[0:15]
 // Cr += -Ai*Bi
v_mfma_f32_32x32x2f32 v[64+0:79+0], v[vgprValuB_X1_I0+0+0+0+1], v[vgprG2LA+4+0], v[64:79]
 // Ci += Ar*Bi
v_mfma_f32_32x32x2f32 v[32+0:47+0], v[vgprValuB_X1_I0+2+0+0], v[vgprG2LA+4+0], v[32:47]
 // Cr += Ar*Br
v_mfma_f32_32x32x2f32 v[96+0:111+0], v[vgprValuB_X1_I0+2+0+0], v[vgprG2LA+4+0+1], v[96:111]
 // Ci += Ai*Br
v_mfma_f32_32x32x2f32 v[32+0:47+0], v[vgprValuB_X1_I0+2+0+0+1], v188, v[32:47]
 // Cr += -Ai*Bi
v_mfma_f32_32x32x2f32 v[96+0:111+0], v[vgprValuB_X1_I0+2+0+0+1], v[vgprG2LA+4+0], v[96:111]
 // Ci += Ar*Bi
v_add_f32 v188, -v[vgprG2LA+6+0+1], 0              // Ai=-Ai
v_mfma_f32_32x32x2f32 v[16+0:31+0], v[vgprValuB_X1_I0+0+0+0], v[vgprG2LA+6+0], v[16:31]
 // Cr += Ar*Br
v_mfma_f32_32x32x2f32 v[80+0:95+0], v[vgprValuB_X1_I0+0+0+0], v[vgprG2LA+6+0+1], v[80:95]
 // Ci += Ai*Br
v_mfma_f32_32x32x2f32 v[16+0:31+0], v[vgprValuB_X1_I0+0+0+0+1], v188, v[16:31]
 // Cr += -Ai*Bi
v_mfma_f32_32x32x2f32 v[80+0:95+0], v[vgprValuB_X1_I0+0+0+0+1], v[vgprG2LA+6+0], v[80:95]
 // Ci += Ar*Bi
v_mfma_f32_32x32x2f32 v[48+0:63+0], v[vgprValuB_X1_I0+2+0+0], v[vgprG2LA+6+0], v[48:63]
 // Cr += Ar*Br
v_mfma_f32_32x32x2f32 v[112+0:127+0], v[vgprValuB_X1_I0+2+0+0], v[vgprG2LA+6+0+1], v[112:127]
 // Ci += Ai*Br
v_mfma_f32_32x32x2f32 v[48+0:63+0], v[vgprValuB_X1_I0+2+0+0+1], v188, v[48:63]
 // Cr += -Ai*Bi
v_mfma_f32_32x32x2f32 v[112+0:127+0], v[vgprValuB_X1_I0+2+0+0+1], v[vgprG2LA+6+0], v[112:127]
 // Ci += Ar*Bi


/* closeLoop loopL finalLoop=0 tailLoop=1 */
s_sub_i32 s[sgprLoopCounterL], s[sgprLoopCounterL], 0x2 // dec counterL (tailLoop)
s_add_u32 s[sgprOrigLoopCounter], s[sgprOrigLoopCounter], 0x2 // inc counterL
s_cmp_le_i32 s[sgprLoopCounterL], 0x0              // counterL<=0
s_cbranch_scc1 TailLoopEndL_7                      // exit LoopL


/* tail loop unroll iter 2 */


/* local read a */


	;; [unrolled: 1-line block ×3, first 2 shown]
/* local read b */

_ds_load_b64 v[vgprValuB_X2_I0+0:vgprValuB_X2_I0+0+1], v[vgprLocalReadAddrB] offset:0 // L -> Reg lro=0 swapByteOffset=0 ti=32 vIdx=0 rIdx=0 oIdx=0 buffer=2 iui=0
_ds_load_b64 v[vgprValuB_X2_I0+2:vgprValuB_X2_I0+2+1], v[vgprLocalReadAddrB] offset:256 // L -> Reg lro=0 swapByteOffset=0 ti=32 vIdx=1 rIdx=0 oIdx=0 buffer=2 iui=0


/* local read inc a */


	;; [unrolled: 1-line block ×3, first 2 shown]
/* local read inc b */

s_mov_b32 s58, 0x400                               // inc
_v_add_co_u32 v[vgprLocalReadAddrB], vcc, s58, v[vgprLocalReadAddrB] // lrB += 1024 (LSU*(MT+PAD)*bpe)

s_waitcnt lgkmcnt(0)                               // lgkmcnt=0 vmcnt=-14wait for local read


v_add_f32 v188, -v[vgprG2LA+8+0+1], 0              // Ai=-Ai
v_mfma_f32_32x32x2f32 v[0+0:15+0], v[vgprValuB_X2_I0+0+0+0], v[vgprG2LA+8+0], v[0:15]
 // Cr += Ar*Br
v_mfma_f32_32x32x2f32 v[64+0:79+0], v[vgprValuB_X2_I0+0+0+0], v[vgprG2LA+8+0+1], v[64:79]
 // Ci += Ai*Br
v_mfma_f32_32x32x2f32 v[0+0:15+0], v[vgprValuB_X2_I0+0+0+0+1], v188, v[0:15]
 // Cr += -Ai*Bi
v_mfma_f32_32x32x2f32 v[64+0:79+0], v[vgprValuB_X2_I0+0+0+0+1], v[vgprG2LA+8+0], v[64:79]
 // Ci += Ar*Bi
v_mfma_f32_32x32x2f32 v[32+0:47+0], v[vgprValuB_X2_I0+2+0+0], v[vgprG2LA+8+0], v[32:47]
 // Cr += Ar*Br
v_mfma_f32_32x32x2f32 v[96+0:111+0], v[vgprValuB_X2_I0+2+0+0], v[vgprG2LA+8+0+1], v[96:111]
 // Ci += Ai*Br
v_mfma_f32_32x32x2f32 v[32+0:47+0], v[vgprValuB_X2_I0+2+0+0+1], v188, v[32:47]
 // Cr += -Ai*Bi
v_mfma_f32_32x32x2f32 v[96+0:111+0], v[vgprValuB_X2_I0+2+0+0+1], v[vgprG2LA+8+0], v[96:111]
 // Ci += Ar*Bi
v_add_f32 v188, -v[vgprG2LA+10+0+1], 0             // Ai=-Ai
v_mfma_f32_32x32x2f32 v[16+0:31+0], v[vgprValuB_X2_I0+0+0+0], v[vgprG2LA+10+0], v[16:31]
 // Cr += Ar*Br
v_mfma_f32_32x32x2f32 v[80+0:95+0], v[vgprValuB_X2_I0+0+0+0], v[vgprG2LA+10+0+1], v[80:95]
 // Ci += Ai*Br
v_mfma_f32_32x32x2f32 v[16+0:31+0], v[vgprValuB_X2_I0+0+0+0+1], v188, v[16:31]
 // Cr += -Ai*Bi
v_mfma_f32_32x32x2f32 v[80+0:95+0], v[vgprValuB_X2_I0+0+0+0+1], v[vgprG2LA+10+0], v[80:95]
 // Ci += Ar*Bi
v_mfma_f32_32x32x2f32 v[48+0:63+0], v[vgprValuB_X2_I0+2+0+0], v[vgprG2LA+10+0], v[48:63]
 // Cr += Ar*Br
v_mfma_f32_32x32x2f32 v[112+0:127+0], v[vgprValuB_X2_I0+2+0+0], v[vgprG2LA+10+0+1], v[112:127]
 // Ci += Ai*Br
v_mfma_f32_32x32x2f32 v[48+0:63+0], v[vgprValuB_X2_I0+2+0+0+1], v188, v[48:63]
 // Cr += -Ai*Bi
v_mfma_f32_32x32x2f32 v[112+0:127+0], v[vgprValuB_X2_I0+2+0+0+1], v[vgprG2LA+10+0], v[112:127]
 // Ci += Ar*Bi


/* closeLoop loopL finalLoop=0 tailLoop=1 */
s_sub_i32 s[sgprLoopCounterL], s[sgprLoopCounterL], 0x2 // dec counterL (tailLoop)
s_add_u32 s[sgprOrigLoopCounter], s[sgprOrigLoopCounter], 0x2 // inc counterL
s_cmp_le_i32 s[sgprLoopCounterL], 0x0              // counterL<=0
s_cbranch_scc1 TailLoopEndL_7                      // exit LoopL


/* tail loop unroll iter 3 */


/* local read a */


	;; [unrolled: 1-line block ×3, first 2 shown]
/* local read b */

_ds_load_b64 v[vgprValuB_X3_I0+0:vgprValuB_X3_I0+0+1], v[vgprLocalReadAddrB] offset:0 // L -> Reg lro=0 swapByteOffset=0 ti=32 vIdx=0 rIdx=0 oIdx=0 buffer=3 iui=0
_ds_load_b64 v[vgprValuB_X3_I0+2:vgprValuB_X3_I0+2+1], v[vgprLocalReadAddrB] offset:256 // L -> Reg lro=0 swapByteOffset=0 ti=32 vIdx=1 rIdx=0 oIdx=0 buffer=3 iui=0


/* local read inc a */


	;; [unrolled: 1-line block ×3, first 2 shown]
/* local read inc b */

s_mov_b32 s58, 0x400                               // inc
_v_add_co_u32 v[vgprLocalReadAddrB], vcc, s58, v[vgprLocalReadAddrB] // lrB += 1024 (LSU*(MT+PAD)*bpe)

s_waitcnt lgkmcnt(0)                               // lgkmcnt=0 vmcnt=-14wait for local read


v_add_f32 v188, -v[vgprG2LA+12+0+1], 0             // Ai=-Ai
v_mfma_f32_32x32x2f32 v[0+0:15+0], v[vgprValuB_X3_I0+0+0+0], v[vgprG2LA+12+0], v[0:15]
 // Cr += Ar*Br
v_mfma_f32_32x32x2f32 v[64+0:79+0], v[vgprValuB_X3_I0+0+0+0], v[vgprG2LA+12+0+1], v[64:79]
 // Ci += Ai*Br
v_mfma_f32_32x32x2f32 v[0+0:15+0], v[vgprValuB_X3_I0+0+0+0+1], v188, v[0:15]
 // Cr += -Ai*Bi
v_mfma_f32_32x32x2f32 v[64+0:79+0], v[vgprValuB_X3_I0+0+0+0+1], v[vgprG2LA+12+0], v[64:79]
 // Ci += Ar*Bi
v_mfma_f32_32x32x2f32 v[32+0:47+0], v[vgprValuB_X3_I0+2+0+0], v[vgprG2LA+12+0], v[32:47]
 // Cr += Ar*Br
v_mfma_f32_32x32x2f32 v[96+0:111+0], v[vgprValuB_X3_I0+2+0+0], v[vgprG2LA+12+0+1], v[96:111]
 // Ci += Ai*Br
v_mfma_f32_32x32x2f32 v[32+0:47+0], v[vgprValuB_X3_I0+2+0+0+1], v188, v[32:47]
 // Cr += -Ai*Bi
v_mfma_f32_32x32x2f32 v[96+0:111+0], v[vgprValuB_X3_I0+2+0+0+1], v[vgprG2LA+12+0], v[96:111]
 // Ci += Ar*Bi
v_add_f32 v188, -v[vgprG2LA+14+0+1], 0             // Ai=-Ai
v_mfma_f32_32x32x2f32 v[16+0:31+0], v[vgprValuB_X3_I0+0+0+0], v[vgprG2LA+14+0], v[16:31]
 // Cr += Ar*Br
v_mfma_f32_32x32x2f32 v[80+0:95+0], v[vgprValuB_X3_I0+0+0+0], v[vgprG2LA+14+0+1], v[80:95]
 // Ci += Ai*Br
v_mfma_f32_32x32x2f32 v[16+0:31+0], v[vgprValuB_X3_I0+0+0+0+1], v188, v[16:31]
 // Cr += -Ai*Bi
v_mfma_f32_32x32x2f32 v[80+0:95+0], v[vgprValuB_X3_I0+0+0+0+1], v[vgprG2LA+14+0], v[80:95]
 // Ci += Ar*Bi
v_mfma_f32_32x32x2f32 v[48+0:63+0], v[vgprValuB_X3_I0+2+0+0], v[vgprG2LA+14+0], v[48:63]
 // Cr += Ar*Br
v_mfma_f32_32x32x2f32 v[112+0:127+0], v[vgprValuB_X3_I0+2+0+0], v[vgprG2LA+14+0+1], v[112:127]
 // Ci += Ai*Br
v_mfma_f32_32x32x2f32 v[48+0:63+0], v[vgprValuB_X3_I0+2+0+0+1], v188, v[48:63]
 // Cr += -Ai*Bi
v_mfma_f32_32x32x2f32 v[112+0:127+0], v[vgprValuB_X3_I0+2+0+0+1], v[vgprG2LA+14+0], v[112:127]
 // Ci += Ar*Bi


/* closeLoop loopL finalLoop=1 tailLoop=1 */
s_sub_i32 s[sgprLoopCounterL], s[sgprLoopCounterL], 0x2 // dec counterL (tailLoop)
s_add_u32 s[sgprOrigLoopCounter], s[sgprOrigLoopCounter], 0x2 // inc counterL
s_cmp_le_i32 s[sgprLoopCounterL], 0x0              // counterL<=0
s_cbranch_scc0 TailLoopBeginL_6                    // restart LoopL
TailLoopEndL_7:

SkipTailLoopL_8:

Summation_End_36:
s_setprio 0                                        // optimization store
/* endSummation: add vgpr [128...186) to pool */
.set NumFullBlocks, UNDEF
.set WgmRemainder1, UNDEF
.set MagicNumberWgmRemainder1, UNDEF

/* Mapping of Acc register -> C Vgpr register */

/* Multiply MI out register with Alpha -> C Vgpr register */


/* shift vector components d0 */

v_mov_b32 v129, s[sgprWorkGroup0]                  // 
v_mul_i32_i24 v129, -0x100, v129                   // wg*MT
_v_add_co_u32 v129, vcc, s[sgprSizesFree+0], v129  // wgMT = Size - wg*MT
v_mov_b32 v130, 0x100                              // MT
v_min_u32 v129, v130, v129                         // wgMT = (wgMT < MT) ? wgMT : MT
v_lshrrev_b32 v128, 6, v[vgprSerial]               // v128 = v[vgprSerial] / 64
v_and_b32 v131, 3, v128                            // v131 = v128 % 4
v_lshrrev_b32 v128, 6, v129                        // v128 = v129 / 64
v_and_b32 v132, 3, v128                            // v132 = v128 % 4
v_cmp_eq_u32 s[56:57], v132, v131                  // wave_id == block_belong_to_wave?
v_cndmask_b32 v129, v130, v129, s[56:57]           // wgMT = (wgMT < MT) ? wgMT : MT

/* mbReg: which mb block need to shift, mb(matrixInstCoal(32) * VectorWidth(2)) */
v_lshrrev_b32 v130, 6, v129                        // v130 = v129 / 64
v_lshlrev_b32 v132, 0x0, v131                      // v132 = v131 * 1
_v_sub_u32 v130, v130, v132                        // 

/* gbReg: glvw block id */
v_lshrrev_b32 v132, 1, v129                        // v132 = v129 / 2

/* tgbReg: glvw block id */
v_lshrrev_b32 v128, 0, v[vgprSerial]               // v128 = v[vgprSerial] / 1
v_and_b32 v133, 31, v128                           // v133 = v128 % 32
v_lshlrev_b32 v133, 0x1, v133                      // v133 = v133 * 2
v_lshrrev_b32 v133, 1, v133                        // v133 = v133 / 2
v_lshlrev_b32 v131, 0x5, v131                      // v131 = v131 * 32
_v_add_co_u32 v133, vcc, v131, v133                // tgbReg = (tid_coal * continOut) / GLVW
_v_sub_u32 v132, v132, v133                        // 

/* vwReg: glvw in which vw block? */
v_and_b32 v131, 1, v129                            // permute register between threads
v_lshrrev_b32 v131, 1, v131                        // permute register between threads

/* rReg : reminder of M_size % GlobalLoadVectorWidth */
v_and_b32 v133, 1, v129                            // v133 = v129 % 2
v_cmp_eq_u32 vcc, v133, 0x1                        // wgMT%VW == 1
s_cbranch_vccnz label_0037                         // branch to shift d0 r=1
s_branch label_0040                                // no shifting

/******************************************/
/* shift d0 r=1                           */
/******************************************/
label_0037:
v_cmp_eq_u32 vcc, v130, 0x0                        // 
s_cbranch_vccnz label_0038                         // branch to shift d0 r1 mb0

/******************************************/
/* shift d0 r=1 mb=0                      */
/******************************************/
label_0038: // r1 mb0 
v_cmp_eq_u32 vcc, v131, 0x0                        // 
s_cbranch_vccnz label_0039                         // branch to shift d0 r1 mb0 vw0

/******************************************/
/* shift d0 r=1 mb=0 vw0                  */
/******************************************/
label_0039: // r1 mb0 vw0 
s_mov_b32 s56, 0                                   // 
_v_cmpx_eq_u32 s[56:57], v132, s56                 // is thread in edge glvw region
v_and_b32 v128, 63, v[vgprSerial]                  // permute register between threads
v_lshlrev_b32 v128, 2, v128                        // permute register between threads
v_mov_b32 v0, v16                                  // glvw 1 mb 0 tt1 0 r 0
v_mov_b32 v64, v80                                 // glvw 1 mb 0 tt1 0 r 0
v_mov_b32 v1, v17                                  // glvw 1 mb 0 tt1 1 r 0
v_mov_b32 v65, v81                                 // glvw 1 mb 0 tt1 1 r 0
	;; [unrolled: 2-line block ×10, first 2 shown]
v_mov_b32 v10, v26                                 // glvw 1 mb 0 tt1 10 r 0
v_mov_b32 v74, v90                                 // glvw 1 mb 0 tt1 10 r 0
	;; [unrolled: 1-line block ×13, first 2 shown]
v_mov_b32 v96, v112                                // glvw 1 mb 0 tt1 16 r 0
v_mov_b32 v33, v49                                 // glvw 1 mb 0 tt1 17 r 0
v_mov_b32 v97, v113                                // glvw 1 mb 0 tt1 17 r 0
v_mov_b32 v34, v50                                 // glvw 1 mb 0 tt1 18 r 0
	;; [unrolled: 2-line block ×4, first 2 shown]
v_mov_b32 v100, v116                               // glvw 1 mb 0 tt1 20 r 0
v_mov_b32 v37, v53                                 // glvw 1 mb 0 tt1 21 r 0
v_mov_b32 v101, v117                               // glvw 1 mb 0 tt1 21 r 0
v_mov_b32 v38, v54                                 // glvw 1 mb 0 tt1 22 r 0
	;; [unrolled: 2-line block ×11, first 2 shown]
v_mov_b32 v111, v127                               // glvw 1 mb 0 tt1 31 r 0
s_mov_b64 s[56:57], 0xFFFFFFFFFFFFFFFF             // to restore all threads active
s_or_saveexec_b64 vcc, s[56:57]                    // all threads active
s_branch label_0040                                // done shifting

label_0040: // end shift0


/* shift vector components d1 */

v_mov_b32 v129, s[sgprWorkGroup1]                  // 
v_mul_i32_i24 v129, -0x40, v129                    // wg*MT
_v_add_co_u32 v129, vcc, s[sgprSizesFree+1], v129  // wgMT = Size - wg*MT
v_mov_b32 v130, 0x40                               // MT
v_min_u32 v129, v130, v129                         // wgMT = (wgMT < MT) ? wgMT : MT
v_lshrrev_b32 v128, 8, v[vgprSerial]               // v128 = v[vgprSerial] / 256
v_and_b32 v131, 0, v128                            // v131 = v128 % 1
v_lshrrev_b32 v128, 5, v129                        // v128 = v129 / 32
v_and_b32 v132, 0, v128                            // v132 = v128 % 1
v_cmp_eq_u32 s[56:57], v132, v131                  // wave_id == block_belong_to_wave?
v_cndmask_b32 v129, v130, v129, s[56:57]           // wgMT = (wgMT < MT) ? wgMT : MT

/* mbReg: which mb block need to shift, mb(matrixInstCoal(32) * VectorWidth(1)) */
v_lshrrev_b32 v130, 3, v129                        // v130 = v129 / 8
v_lshlrev_b32 v132, 0x2, v131                      // v132 = v131 * 4
_v_sub_u32 v130, v130, v132                        // 

/* gbReg: glvw block id */
v_lshrrev_b32 v132, 1, v129                        // v132 = v129 / 2

/* tgbReg: glvw block id */
v_lshrrev_b32 v128, 5, v[vgprSerial]               // v128 = v[vgprSerial] / 32
v_and_b32 v133, 1, v128                            // v133 = v128 % 2
v_lshlrev_b32 v133, 0x2, v133                      // v133 = v133 * 4
v_lshrrev_b32 v133, 1, v133                        // v133 = v133 / 2
v_lshlrev_b32 v131, 0x4, v131                      // v131 = v131 * 16
_v_add_co_u32 v133, vcc, v131, v133                // tgbReg = (tid_coal * continOut) / GLVW
_v_sub_u32 v132, v132, v133                        // 

/* vwReg: glvw in which vw block? */
v_and_b32 v131, 3, v129                            // permute register between threads
v_lshrrev_b32 v131, 1, v131                        // permute register between threads

/* rReg : reminder of M_size % GlobalLoadVectorWidth */
v_and_b32 v133, 1, v129                            // v133 = v129 % 2
v_cmp_eq_u32 vcc, v133, 0x1                        // wgMT%VW == 1
s_cbranch_vccnz label_0043                         // branch to shift d1 r=1
s_branch label_0068                                // no shifting

/******************************************/
/* shift d1 r=1                           */
/******************************************/
label_0043:
v_cmp_eq_u32 vcc, v130, 0x0                        // 
s_cbranch_vccnz label_0044                         // branch to shift d1 r1 mb0
v_cmp_eq_u32 vcc, v130, 0x1                        // 
s_cbranch_vccnz label_0047                         // branch to shift d1 r1 mb1
v_cmp_eq_u32 vcc, v130, 0x2                        // 
s_cbranch_vccnz label_0050                         // branch to shift d1 r1 mb2
v_cmp_eq_u32 vcc, v130, 0x3                        // 
s_cbranch_vccnz label_0053                         // branch to shift d1 r1 mb3
v_cmp_eq_u32 vcc, v130, 0x4                        // 
s_cbranch_vccnz label_0056                         // branch to shift d1 r1 mb4
v_cmp_eq_u32 vcc, v130, 0x5                        // 
s_cbranch_vccnz label_0059                         // branch to shift d1 r1 mb5
v_cmp_eq_u32 vcc, v130, 0x6                        // 
s_cbranch_vccnz label_0062                         // branch to shift d1 r1 mb6
v_cmp_eq_u32 vcc, v130, 0x7                        // 
s_cbranch_vccnz label_0065                         // branch to shift d1 r1 mb7

/******************************************/
/* shift d1 r=1 mb=0                      */
/******************************************/
label_0044: // r1 mb0 
v_cmp_eq_u32 vcc, v131, 0x0                        // 
s_cbranch_vccnz label_0045                         // branch to shift d1 r1 mb0 vw0
v_cmp_eq_u32 vcc, v131, 0x1                        // 
s_cbranch_vccnz label_0046                         // branch to shift d1 r1 mb0 vw1

/******************************************/
/* shift d1 r=1 mb=1                      */
/******************************************/
label_0047: // r1 mb1 
v_cmp_eq_u32 vcc, v131, 0x0                        // 
s_cbranch_vccnz label_0048                         // branch to shift d1 r1 mb1 vw0
v_cmp_eq_u32 vcc, v131, 0x1                        // 
s_cbranch_vccnz label_0049                         // branch to shift d1 r1 mb1 vw1

/******************************************/
/* shift d1 r=1 mb=2                      */
/******************************************/
label_0050: // r1 mb2 
v_cmp_eq_u32 vcc, v131, 0x0                        // 
s_cbranch_vccnz label_0051                         // branch to shift d1 r1 mb2 vw0
v_cmp_eq_u32 vcc, v131, 0x1                        // 
s_cbranch_vccnz label_0052                         // branch to shift d1 r1 mb2 vw1

/******************************************/
/* shift d1 r=1 mb=3                      */
/******************************************/
label_0053: // r1 mb3 
v_cmp_eq_u32 vcc, v131, 0x0                        // 
s_cbranch_vccnz label_0054                         // branch to shift d1 r1 mb3 vw0
v_cmp_eq_u32 vcc, v131, 0x1                        // 
s_cbranch_vccnz label_0055                         // branch to shift d1 r1 mb3 vw1

/******************************************/
/* shift d1 r=1 mb=4                      */
/******************************************/
label_0056: // r1 mb4 
v_cmp_eq_u32 vcc, v131, 0x0                        // 
s_cbranch_vccnz label_0057                         // branch to shift d1 r1 mb4 vw0
v_cmp_eq_u32 vcc, v131, 0x1                        // 
s_cbranch_vccnz label_0058                         // branch to shift d1 r1 mb4 vw1

/******************************************/
/* shift d1 r=1 mb=5                      */
/******************************************/
label_0059: // r1 mb5 
v_cmp_eq_u32 vcc, v131, 0x0                        // 
s_cbranch_vccnz label_0060                         // branch to shift d1 r1 mb5 vw0
v_cmp_eq_u32 vcc, v131, 0x1                        // 
s_cbranch_vccnz label_0061                         // branch to shift d1 r1 mb5 vw1

/******************************************/
/* shift d1 r=1 mb=6                      */
/******************************************/
label_0062: // r1 mb6 
v_cmp_eq_u32 vcc, v131, 0x0                        // 
s_cbranch_vccnz label_0063                         // branch to shift d1 r1 mb6 vw0
v_cmp_eq_u32 vcc, v131, 0x1                        // 
s_cbranch_vccnz label_0064                         // branch to shift d1 r1 mb6 vw1

/******************************************/
/* shift d1 r=1 mb=7                      */
/******************************************/
label_0065: // r1 mb7 
v_cmp_eq_u32 vcc, v131, 0x0                        // 
s_cbranch_vccnz label_0066                         // branch to shift d1 r1 mb7 vw0
v_cmp_eq_u32 vcc, v131, 0x1                        // 
s_cbranch_vccnz label_0067                         // branch to shift d1 r1 mb7 vw1

/******************************************/
/* shift d1 r=1 mb=0 vw0                  */
/******************************************/
label_0045: // r1 mb0 vw0 
s_mov_b32 s56, 0                                   // 
_v_cmpx_eq_u32 s[56:57], v132, s56                 // is thread in edge glvw region
v_and_b32 v128, 63, v[vgprSerial]                  // permute register between threads
v_lshlrev_b32 v128, 2, v128                        // permute register between threads
v_mov_b32 v0, v1                                   // glvw 1 mb 0 tt1 0 r 0
v_mov_b32 v64, v65                                 // glvw 1 mb 0 tt1 0 r 0
v_mov_b32 v16, v17                                 // glvw 1 mb 0 tt1 1 r 0
	;; [unrolled: 1-line block ×3, first 2 shown]
s_mov_b64 s[56:57], 0xFFFFFFFFFFFFFFFF             // to restore all threads active
s_or_saveexec_b64 vcc, s[56:57]                    // all threads active
s_branch label_0068                                // done shifting


/******************************************/
/* shift d1 r=1 mb=0 vw1                  */
/******************************************/
label_0046: // r1 mb0 vw1 
s_mov_b32 s56, 1                                   // 
_v_cmpx_eq_u32 s[56:57], v132, s56                 // is thread in edge glvw region
v_and_b32 v128, 63, v[vgprSerial]                  // permute register between threads
v_lshlrev_b32 v128, 2, v128                        // permute register between threads
v_mov_b32 v2, v3                                   // glvw 1 mb 0 tt1 0 r 0
v_mov_b32 v66, v67                                 // glvw 1 mb 0 tt1 0 r 0
v_mov_b32 v18, v19                                 // glvw 1 mb 0 tt1 1 r 0
v_mov_b32 v82, v83                                 // glvw 1 mb 0 tt1 1 r 0
s_mov_b64 s[56:57], 0xFFFFFFFFFFFFFFFF             // to restore all threads active
s_or_saveexec_b64 vcc, s[56:57]                    // all threads active
s_branch label_0068                                // done shifting


/******************************************/
/* shift d1 r=1 mb=1 vw0                  */
/******************************************/
label_0048: // r1 mb1 vw0 
s_mov_b32 s56, 4                                   // 
_v_cmpx_eq_u32 s[56:57], v132, s56                 // is thread in edge glvw region
v_and_b32 v128, 63, v[vgprSerial]                  // permute register between threads
v_lshlrev_b32 v128, 2, v128                        // permute register between threads
v_mov_b32 v4, v5                                   // glvw 1 mb 1 tt1 0 r 0
v_mov_b32 v68, v69                                 // glvw 1 mb 1 tt1 0 r 0
v_mov_b32 v20, v21                                 // glvw 1 mb 1 tt1 1 r 0
	;; [unrolled: 1-line block ×3, first 2 shown]
s_mov_b64 s[56:57], 0xFFFFFFFFFFFFFFFF             // to restore all threads active
s_or_saveexec_b64 vcc, s[56:57]                    // all threads active
s_branch label_0068                                // done shifting


/******************************************/
/* shift d1 r=1 mb=1 vw1                  */
/******************************************/
label_0049: // r1 mb1 vw1 
s_mov_b32 s56, 5                                   // 
_v_cmpx_eq_u32 s[56:57], v132, s56                 // is thread in edge glvw region
v_and_b32 v128, 63, v[vgprSerial]                  // permute register between threads
v_lshlrev_b32 v128, 2, v128                        // permute register between threads
v_mov_b32 v6, v7                                   // glvw 1 mb 1 tt1 0 r 0
v_mov_b32 v70, v71                                 // glvw 1 mb 1 tt1 0 r 0
v_mov_b32 v22, v23                                 // glvw 1 mb 1 tt1 1 r 0
v_mov_b32 v86, v87                                 // glvw 1 mb 1 tt1 1 r 0
s_mov_b64 s[56:57], 0xFFFFFFFFFFFFFFFF             // to restore all threads active
s_or_saveexec_b64 vcc, s[56:57]                    // all threads active
s_branch label_0068                                // done shifting


/******************************************/
/* shift d1 r=1 mb=2 vw0                  */
/******************************************/
label_0051: // r1 mb2 vw0 
s_mov_b32 s56, 8                                   // 
_v_cmpx_eq_u32 s[56:57], v132, s56                 // is thread in edge glvw region
v_and_b32 v128, 63, v[vgprSerial]                  // permute register between threads
v_lshlrev_b32 v128, 2, v128                        // permute register between threads
v_mov_b32 v8, v9                                   // glvw 1 mb 2 tt1 0 r 0
v_mov_b32 v72, v73                                 // glvw 1 mb 2 tt1 0 r 0
v_mov_b32 v24, v25                                 // glvw 1 mb 2 tt1 1 r 0
	;; [unrolled: 1-line block ×3, first 2 shown]
s_mov_b64 s[56:57], 0xFFFFFFFFFFFFFFFF             // to restore all threads active
s_or_saveexec_b64 vcc, s[56:57]                    // all threads active
s_branch label_0068                                // done shifting


/******************************************/
/* shift d1 r=1 mb=2 vw1                  */
/******************************************/
label_0052: // r1 mb2 vw1 
s_mov_b32 s56, 9                                   // 
_v_cmpx_eq_u32 s[56:57], v132, s56                 // is thread in edge glvw region
v_and_b32 v128, 63, v[vgprSerial]                  // permute register between threads
v_lshlrev_b32 v128, 2, v128                        // permute register between threads
v_mov_b32 v10, v11                                 // glvw 1 mb 2 tt1 0 r 0
v_mov_b32 v74, v75                                 // glvw 1 mb 2 tt1 0 r 0
	;; [unrolled: 1-line block ×4, first 2 shown]
s_mov_b64 s[56:57], 0xFFFFFFFFFFFFFFFF             // to restore all threads active
s_or_saveexec_b64 vcc, s[56:57]                    // all threads active
s_branch label_0068                                // done shifting


/******************************************/
/* shift d1 r=1 mb=3 vw0                  */
/******************************************/
label_0054: // r1 mb3 vw0 
s_mov_b32 s56, 12                                  // 
_v_cmpx_eq_u32 s[56:57], v132, s56                 // is thread in edge glvw region
v_and_b32 v128, 63, v[vgprSerial]                  // permute register between threads
v_lshlrev_b32 v128, 2, v128                        // permute register between threads
v_mov_b32 v12, v13                                 // glvw 1 mb 3 tt1 0 r 0
v_mov_b32 v76, v77                                 // glvw 1 mb 3 tt1 0 r 0
	;; [unrolled: 1-line block ×4, first 2 shown]
s_mov_b64 s[56:57], 0xFFFFFFFFFFFFFFFF             // to restore all threads active
s_or_saveexec_b64 vcc, s[56:57]                    // all threads active
s_branch label_0068                                // done shifting


/******************************************/
/* shift d1 r=1 mb=3 vw1                  */
/******************************************/
label_0055: // r1 mb3 vw1 
s_mov_b32 s56, 13                                  // 
_v_cmpx_eq_u32 s[56:57], v132, s56                 // is thread in edge glvw region
v_and_b32 v128, 63, v[vgprSerial]                  // permute register between threads
v_lshlrev_b32 v128, 2, v128                        // permute register between threads
v_mov_b32 v14, v15                                 // glvw 1 mb 3 tt1 0 r 0
v_mov_b32 v78, v79                                 // glvw 1 mb 3 tt1 0 r 0
	;; [unrolled: 1-line block ×4, first 2 shown]
s_mov_b64 s[56:57], 0xFFFFFFFFFFFFFFFF             // to restore all threads active
s_or_saveexec_b64 vcc, s[56:57]                    // all threads active
s_branch label_0068                                // done shifting


/******************************************/
/* shift d1 r=1 mb=4 vw0                  */
/******************************************/
label_0057: // r1 mb4 vw0 
s_mov_b32 s56, 16                                  // 
_v_cmpx_eq_u32 s[56:57], v132, s56                 // is thread in edge glvw region
v_and_b32 v128, 63, v[vgprSerial]                  // permute register between threads
v_lshlrev_b32 v128, 2, v128                        // permute register between threads
v_mov_b32 v32, v33                                 // glvw 1 mb 4 tt1 0 r 0
v_mov_b32 v96, v97                                 // glvw 1 mb 4 tt1 0 r 0
	;; [unrolled: 1-line block ×3, first 2 shown]
v_mov_b32 v112, v113                               // glvw 1 mb 4 tt1 1 r 0
s_mov_b64 s[56:57], 0xFFFFFFFFFFFFFFFF             // to restore all threads active
s_or_saveexec_b64 vcc, s[56:57]                    // all threads active
s_branch label_0068                                // done shifting


/******************************************/
/* shift d1 r=1 mb=4 vw1                  */
/******************************************/
label_0058: // r1 mb4 vw1 
s_mov_b32 s56, 17                                  // 
_v_cmpx_eq_u32 s[56:57], v132, s56                 // is thread in edge glvw region
v_and_b32 v128, 63, v[vgprSerial]                  // permute register between threads
v_lshlrev_b32 v128, 2, v128                        // permute register between threads
v_mov_b32 v34, v35                                 // glvw 1 mb 4 tt1 0 r 0
v_mov_b32 v98, v99                                 // glvw 1 mb 4 tt1 0 r 0
	;; [unrolled: 1-line block ×3, first 2 shown]
v_mov_b32 v114, v115                               // glvw 1 mb 4 tt1 1 r 0
s_mov_b64 s[56:57], 0xFFFFFFFFFFFFFFFF             // to restore all threads active
s_or_saveexec_b64 vcc, s[56:57]                    // all threads active
s_branch label_0068                                // done shifting


/******************************************/
/* shift d1 r=1 mb=5 vw0                  */
/******************************************/
label_0060: // r1 mb5 vw0 
s_mov_b32 s56, 20                                  // 
_v_cmpx_eq_u32 s[56:57], v132, s56                 // is thread in edge glvw region
v_and_b32 v128, 63, v[vgprSerial]                  // permute register between threads
v_lshlrev_b32 v128, 2, v128                        // permute register between threads
v_mov_b32 v36, v37                                 // glvw 1 mb 5 tt1 0 r 0
v_mov_b32 v100, v101                               // glvw 1 mb 5 tt1 0 r 0
v_mov_b32 v52, v53                                 // glvw 1 mb 5 tt1 1 r 0
v_mov_b32 v116, v117                               // glvw 1 mb 5 tt1 1 r 0
s_mov_b64 s[56:57], 0xFFFFFFFFFFFFFFFF             // to restore all threads active
s_or_saveexec_b64 vcc, s[56:57]                    // all threads active
s_branch label_0068                                // done shifting


/******************************************/
/* shift d1 r=1 mb=5 vw1                  */
/******************************************/
label_0061: // r1 mb5 vw1 
s_mov_b32 s56, 21                                  // 
_v_cmpx_eq_u32 s[56:57], v132, s56                 // is thread in edge glvw region
v_and_b32 v128, 63, v[vgprSerial]                  // permute register between threads
v_lshlrev_b32 v128, 2, v128                        // permute register between threads
v_mov_b32 v38, v39                                 // glvw 1 mb 5 tt1 0 r 0
v_mov_b32 v102, v103                               // glvw 1 mb 5 tt1 0 r 0
v_mov_b32 v54, v55                                 // glvw 1 mb 5 tt1 1 r 0
v_mov_b32 v118, v119                               // glvw 1 mb 5 tt1 1 r 0
s_mov_b64 s[56:57], 0xFFFFFFFFFFFFFFFF             // to restore all threads active
s_or_saveexec_b64 vcc, s[56:57]                    // all threads active
s_branch label_0068                                // done shifting


/******************************************/
/* shift d1 r=1 mb=6 vw0                  */
/******************************************/
label_0063: // r1 mb6 vw0 
s_mov_b32 s56, 24                                  // 
_v_cmpx_eq_u32 s[56:57], v132, s56                 // is thread in edge glvw region
v_and_b32 v128, 63, v[vgprSerial]                  // permute register between threads
v_lshlrev_b32 v128, 2, v128                        // permute register between threads
v_mov_b32 v40, v41                                 // glvw 1 mb 6 tt1 0 r 0
v_mov_b32 v104, v105                               // glvw 1 mb 6 tt1 0 r 0
v_mov_b32 v56, v57                                 // glvw 1 mb 6 tt1 1 r 0
v_mov_b32 v120, v121                               // glvw 1 mb 6 tt1 1 r 0
s_mov_b64 s[56:57], 0xFFFFFFFFFFFFFFFF             // to restore all threads active
s_or_saveexec_b64 vcc, s[56:57]                    // all threads active
s_branch label_0068                                // done shifting


/******************************************/
/* shift d1 r=1 mb=6 vw1                  */
/******************************************/
label_0064: // r1 mb6 vw1 
s_mov_b32 s56, 25                                  // 
_v_cmpx_eq_u32 s[56:57], v132, s56                 // is thread in edge glvw region
v_and_b32 v128, 63, v[vgprSerial]                  // permute register between threads
v_lshlrev_b32 v128, 2, v128                        // permute register between threads
v_mov_b32 v42, v43                                 // glvw 1 mb 6 tt1 0 r 0
v_mov_b32 v106, v107                               // glvw 1 mb 6 tt1 0 r 0
v_mov_b32 v58, v59                                 // glvw 1 mb 6 tt1 1 r 0
v_mov_b32 v122, v123                               // glvw 1 mb 6 tt1 1 r 0
s_mov_b64 s[56:57], 0xFFFFFFFFFFFFFFFF             // to restore all threads active
s_or_saveexec_b64 vcc, s[56:57]                    // all threads active
s_branch label_0068                                // done shifting


/******************************************/
/* shift d1 r=1 mb=7 vw0                  */
/******************************************/
label_0066: // r1 mb7 vw0 
s_mov_b32 s56, 28                                  // 
_v_cmpx_eq_u32 s[56:57], v132, s56                 // is thread in edge glvw region
v_and_b32 v128, 63, v[vgprSerial]                  // permute register between threads
v_lshlrev_b32 v128, 2, v128                        // permute register between threads
v_mov_b32 v44, v45                                 // glvw 1 mb 7 tt1 0 r 0
v_mov_b32 v108, v109                               // glvw 1 mb 7 tt1 0 r 0
v_mov_b32 v60, v61                                 // glvw 1 mb 7 tt1 1 r 0
v_mov_b32 v124, v125                               // glvw 1 mb 7 tt1 1 r 0
s_mov_b64 s[56:57], 0xFFFFFFFFFFFFFFFF             // to restore all threads active
s_or_saveexec_b64 vcc, s[56:57]                    // all threads active
s_branch label_0068                                // done shifting


/******************************************/
/* shift d1 r=1 mb=7 vw1                  */
/******************************************/
label_0067: // r1 mb7 vw1 
s_mov_b32 s56, 29                                  // 
_v_cmpx_eq_u32 s[56:57], v132, s56                 // is thread in edge glvw region
v_and_b32 v128, 63, v[vgprSerial]                  // permute register between threads
v_lshlrev_b32 v128, 2, v128                        // permute register between threads
v_mov_b32 v46, v47                                 // glvw 1 mb 7 tt1 0 r 0
v_mov_b32 v110, v111                               // glvw 1 mb 7 tt1 0 r 0
v_mov_b32 v62, v63                                 // glvw 1 mb 7 tt1 1 r 0
v_mov_b32 v126, v127                               // glvw 1 mb 7 tt1 1 r 0
s_mov_b64 s[56:57], 0xFFFFFFFFFFFFFFFF             // to restore all threads active
s_or_saveexec_b64 vcc, s[56:57]                    // all threads active
s_branch label_0068                                // done shifting

label_0068: // end shift0


	;; [unrolled: 1-line block ×3, first 2 shown]
/* not-LocalSplitU: global write indices */

/* computeStoreVgprs */
v_lshrrev_b32 v132, 6, v[vgprSerial]               // v132 = v[vgprSerial] / 64
v_and_b32 v129, 63, v[vgprSerial]                  // v129 = v[vgprSerial] % 64
v_lshrrev_b32 v129, 5, v129                        // v129 = v129 / 32
v_lshlrev_b32 v129, 0x2, v129                      // thread0 * continuous_output
v_lshrrev_b32 v133, 2, v132                        // v133 = v132 / 4
v_mul_lo_u32 v133, 0x20, v133                      // wave coordination offset 1
_v_add_lshl_u32 v129, v133, v129, 0                // coordination 1 = vwb *(wave_id1 + tid1)
v_mul_lo_u32 v130, v129, s[sgprStrideC1J]          //  offset 1
v_mul_lo_u32 v131, v129, s[sgprStrideD1J]          //  offset 1
v_and_b32 v133, 3, v132                            // v133 = v132 % 4
v_mul_lo_u32 v133, 0x20, v133                      // wave coordination offset 0
v_and_b32 v128, 31, v[vgprSerial]                  // v128 = v[vgprSerial] % 32
_v_add_lshl_u32 v128, v133, v128, 1                // coordination 0 = vwa *(wave_id0 + tid0)
s_mul_i32 s55, 256, s[sgprWorkGroup0]              // wgp0 * MT0
_v_add_u32 v128, s55, v128                         // coord 0 = (tid0/MI_m)*4 + waveG0*MIB_m + MT0*SG0
s_mul_i32 s55, 64, s[sgprWorkGroup1]               // wgp1 * MT1
_v_add_u32 v129, s55, v129                         // coord 1 = (tid0%MI_m) + waveG1*MIB_n + MT1*SG1


/* not-LocalSplitU: global write */

s_mov_b32 s55, s[sgprBeta+0]                       // tmp = Beta[0]
s_or_b32 s55, s[sgprBeta+1], s55                   // tmp |= Beta[1] 
s_cmpk_eq_u32 s55, 0x0                             // Beta == 0
s_cbranch_scc0 GW_Beta_107                         // Branch if Beta is not zero

s_and_b32 s56, 255, s[sgprSizeI]                   // s56 = s[sgprSizeI] % 256
s_add_u32 s57, -0x1, s[sgprNumWorkGroups0]         // 
s_cmp_ge_u32 s[sgprWorkGroup0], s57                // wg0 >= nwg0-1 ?
s_cselect_b32 s56, s56, 0                          // set rMT0
s_cmpk_gt_u32 s56, 0x0                             // rMT0 > 0
s_cbranch_scc1 GW_B0_E1_98                         // jump if edges required
s_and_b32 s56, 63, s[sgprSizeJ]                    // s56 = s[sgprSizeJ] % 64
s_add_u32 s57, -0x1, s[sgprNumWorkGroups1]         // 
s_cmp_ge_u32 s[sgprWorkGroup1], s57                // wg1 >= nwg1-1
s_cselect_b32 s56, s56, 0                          // set rMT1
s_cmpk_gt_u32 s56, 0x0                             // rMT1 > 0
s_cbranch_scc1 GW_B0_E1_98                         // jump if edges required
GW_B0_E0_95:

/* edge=0, allocate 2 sgpr. perBatchTmpS=2 perBatchMaskS=0 perElementMaskS=0 elementsPerBatch=29 */
/* optSingleColVgpr=1 optSharedColVgpr=0 optSGPRUsage=BufferLoad_Mask optSrdIncForRow=1 */
s_sleep 3 // optimization: sync and wait
s_barrier

/******************************************/
/* Global Write Alpha Batch #0 (d1,d0,vc1,vc0) = */
/*    (0,0,0,0:vw2); (0,0,1,0:vw2); (0,0,2,0:vw2); (0,0,3,0:vw2); (1,0,0,0:vw2); (1,0,1,0:vw2); (1,0,2,0:vw2); (1,0,3,0:vw2); (2,0,0,0:vw2); (2,0,1,0:vw2); (2,0,2,0:vw2); (2,0,3,0:vw2); (3,0,0,0:vw2); (3,0,1,0:vw2); (3,0,2,0:vw2); (3,0,3,0:vw2); (4,0,0,0:vw2); (4,0,1,0:vw2); (4,0,2,0:vw2); (4,0,3,0:vw2); (5,0,0,0:vw2); (5,0,1,0:vw2); (5,0,2,0:vw2); (5,0,3,0:vw2); (6,0,0,0:vw2); (6,0,1,0:vw2); (6,0,2,0:vw2); (6,0,3,0:vw2); (7,0,0,0:vw2) */
/******************************************/

/* calc coords, apply mask, and issue loads (if necessary) */
/* (d1,vc1,d0,vc0)=(0,0,0,0) */
/* (d1,vc1,d0,vc0)=(0,1,0,0) */
	;; [unrolled: 1-line block ×29, first 2 shown]
_v_add_lshl_u32 v134, v131, v128, 0x3              // optSingleColVgpr scaleToBpe: sharedAddrVgpr <- cinRowPtr + coord0, scaled by BPE. BSHERE:coord0=128, coord0Vgpr=128

/* rC *= alpha batchElements=[(0, 0, 0, 0), (0, 0, 1, 0), (0, 0, 2, 0), (0, 0, 3, 0), (1, 0, 0, 0), (1, 0, 1, 0), (1, 0, 2, 0), (1, 0, 3, 0), (2, 0, 0, 0), (2, 0, 1, 0), (2, 0, 2, 0), (2, 0, 3, 0), (3, 0, 0, 0), (3, 0, 1, 0), (3, 0, 2, 0), (3, 0, 3, 0), (4, 0, 0, 0), (4, 0, 1, 0), (4, 0, 2, 0), (4, 0, 3, 0), (5, 0, 0, 0), (5, 0, 1, 0), (5, 0, 2, 0), (5, 0, 3, 0), (6, 0, 0, 0), (6, 0, 1, 0), (6, 0, 2, 0), (6, 0, 3, 0), (7, 0, 0, 0)] */
v_mul_f32 v132, s[sgprAlpha+0], v[vgprValuC+0] // 
v_mul_f32 v133, s[sgprAlpha+1], v[vgprValuC+0] // 
v_fma_f32 v[vgprValuC+136], s[sgprAlpha+1], -v[vgprValuC+64], v132
v_fma_f32 v[vgprValuC+136 +1], s[sgprAlpha+0], v[vgprValuC+64], v133
v_mul_f32 v132, s[sgprAlpha+0], v[vgprValuC+16] // 
v_mul_f32 v133, s[sgprAlpha+1], v[vgprValuC+16] // 
v_fma_f32 v[vgprValuC+138], s[sgprAlpha+1], -v[vgprValuC+80], v132
v_fma_f32 v[vgprValuC+138 +1], s[sgprAlpha+0], v[vgprValuC+80], v133
	;; [unrolled: 4-line block ×58, first 2 shown]

/* apply mask, calc new C and issue writes */
_buffer_store_b128 v[136:139], v134, s[sgprSrdD:sgprSrdD+3], 0, offen, offset:0,  glc slc // store D
s_lshl_b32  s56, s[sgprStrideD1J], 3               // incToNextRow: Scale by BPE
s_add_u32  s[sgprSrdD+0], s[sgprSrdD+0], s56       // incToNextRow: gra SRD += inc(lower)
s_addc_u32  s[sgprSrdD+1], s[sgprSrdD+1], 0        // incToNextRow: gra SRD += inc(upper)
_buffer_store_b128 v[140:143], v134, s[sgprSrdD:sgprSrdD+3], 0, offen, offset:0,  glc slc // store D
s_lshl_b32  s56, s[sgprStrideD1J], 3               // incToNextRow: Scale by BPE
s_add_u32  s[sgprSrdD+0], s[sgprSrdD+0], s56       // incToNextRow: gra SRD += inc(lower)
s_addc_u32  s[sgprSrdD+1], s[sgprSrdD+1], 0        // incToNextRow: gra SRD += inc(upper)
_buffer_store_b128 v[144:147], v134, s[sgprSrdD:sgprSrdD+3], 0, offen, offset:0,  glc slc // store D
s_lshl_b32  s56, s[sgprStrideD1J], 3               // incToNextRow: Scale by BPE
s_add_u32  s[sgprSrdD+0], s[sgprSrdD+0], s56       // incToNextRow: gra SRD += inc(lower)
s_addc_u32  s[sgprSrdD+1], s[sgprSrdD+1], 0        // incToNextRow: gra SRD += inc(upper)
_buffer_store_b128 v[148:151], v134, s[sgprSrdD:sgprSrdD+3], 0, offen, offset:0,  glc slc // store D
s_mul_i32 s56, s[sgprStrideD1J], 40                // scale StrideD *= numRows(5) * bpe
s_add_u32  s[sgprSrdD+0], s[sgprSrdD+0], s56       // incToNextRow: gra SRD += inc(lower)
s_addc_u32  s[sgprSrdD+1], s[sgprSrdD+1], 0        // incToNextRow: gra SRD += inc(upper)
_buffer_store_b128 v[152:155], v134, s[sgprSrdD:sgprSrdD+3], 0, offen, offset:0,  glc slc // store D
s_lshl_b32  s56, s[sgprStrideD1J], 3               // incToNextRow: Scale by BPE
s_add_u32  s[sgprSrdD+0], s[sgprSrdD+0], s56       // incToNextRow: gra SRD += inc(lower)
s_addc_u32  s[sgprSrdD+1], s[sgprSrdD+1], 0        // incToNextRow: gra SRD += inc(upper)
_buffer_store_b128 v[156:159], v134, s[sgprSrdD:sgprSrdD+3], 0, offen, offset:0,  glc slc // store D
s_lshl_b32  s56, s[sgprStrideD1J], 3               // incToNextRow: Scale by BPE
s_add_u32  s[sgprSrdD+0], s[sgprSrdD+0], s56       // incToNextRow: gra SRD += inc(lower)
s_addc_u32  s[sgprSrdD+1], s[sgprSrdD+1], 0        // incToNextRow: gra SRD += inc(upper)
_buffer_store_b128 v[160:163], v134, s[sgprSrdD:sgprSrdD+3], 0, offen, offset:0,  glc slc // store D
s_lshl_b32  s56, s[sgprStrideD1J], 3               // incToNextRow: Scale by BPE
s_add_u32  s[sgprSrdD+0], s[sgprSrdD+0], s56       // incToNextRow: gra SRD += inc(lower)
s_addc_u32  s[sgprSrdD+1], s[sgprSrdD+1], 0        // incToNextRow: gra SRD += inc(upper)
_buffer_store_b128 v[164:167], v134, s[sgprSrdD:sgprSrdD+3], 0, offen, offset:0,  glc slc // store D
s_mul_i32 s56, s[sgprStrideD1J], 40                // scale StrideD *= numRows(5) * bpe
s_add_u32  s[sgprSrdD+0], s[sgprSrdD+0], s56       // incToNextRow: gra SRD += inc(lower)
s_addc_u32  s[sgprSrdD+1], s[sgprSrdD+1], 0        // incToNextRow: gra SRD += inc(upper)
_buffer_store_b128 v[168:171], v134, s[sgprSrdD:sgprSrdD+3], 0, offen, offset:0,  glc slc // store D
s_lshl_b32  s56, s[sgprStrideD1J], 3               // incToNextRow: Scale by BPE
s_add_u32  s[sgprSrdD+0], s[sgprSrdD+0], s56       // incToNextRow: gra SRD += inc(lower)
s_addc_u32  s[sgprSrdD+1], s[sgprSrdD+1], 0        // incToNextRow: gra SRD += inc(upper)
_buffer_store_b128 v[172:175], v134, s[sgprSrdD:sgprSrdD+3], 0, offen, offset:0,  glc slc // store D
s_lshl_b32  s56, s[sgprStrideD1J], 3               // incToNextRow: Scale by BPE
s_add_u32  s[sgprSrdD+0], s[sgprSrdD+0], s56       // incToNextRow: gra SRD += inc(lower)
s_addc_u32  s[sgprSrdD+1], s[sgprSrdD+1], 0        // incToNextRow: gra SRD += inc(upper)
_buffer_store_b128 v[176:179], v134, s[sgprSrdD:sgprSrdD+3], 0, offen, offset:0,  glc slc // store D
s_lshl_b32  s56, s[sgprStrideD1J], 3               // incToNextRow: Scale by BPE
s_add_u32  s[sgprSrdD+0], s[sgprSrdD+0], s56       // incToNextRow: gra SRD += inc(lower)
s_addc_u32  s[sgprSrdD+1], s[sgprSrdD+1], 0        // incToNextRow: gra SRD += inc(upper)
_buffer_store_b128 v[180:183], v134, s[sgprSrdD:sgprSrdD+3], 0, offen, offset:0,  glc slc // store D
s_mul_i32 s56, s[sgprStrideD1J], 40                // scale StrideD *= numRows(5) * bpe
s_add_u32  s[sgprSrdD+0], s[sgprSrdD+0], s56       // incToNextRow: gra SRD += inc(lower)
s_addc_u32  s[sgprSrdD+1], s[sgprSrdD+1], 0        // incToNextRow: gra SRD += inc(upper)
_buffer_store_b128 v[188:191], v134, s[sgprSrdD:sgprSrdD+3], 0, offen, offset:0,  glc slc // store D
s_lshl_b32  s56, s[sgprStrideD1J], 3               // incToNextRow: Scale by BPE
s_add_u32  s[sgprSrdD+0], s[sgprSrdD+0], s56       // incToNextRow: gra SRD += inc(lower)
s_addc_u32  s[sgprSrdD+1], s[sgprSrdD+1], 0        // incToNextRow: gra SRD += inc(upper)
_buffer_store_b128 v[192:195], v134, s[sgprSrdD:sgprSrdD+3], 0, offen, offset:0,  glc slc // store D
s_lshl_b32  s56, s[sgprStrideD1J], 3               // incToNextRow: Scale by BPE
s_add_u32  s[sgprSrdD+0], s[sgprSrdD+0], s56       // incToNextRow: gra SRD += inc(lower)
s_addc_u32  s[sgprSrdD+1], s[sgprSrdD+1], 0        // incToNextRow: gra SRD += inc(upper)
_buffer_store_b128 v[196:199], v134, s[sgprSrdD:sgprSrdD+3], 0, offen, offset:0,  glc slc // store D
s_lshl_b32  s56, s[sgprStrideD1J], 3               // incToNextRow: Scale by BPE
s_add_u32  s[sgprSrdD+0], s[sgprSrdD+0], s56       // incToNextRow: gra SRD += inc(lower)
s_addc_u32  s[sgprSrdD+1], s[sgprSrdD+1], 0        // incToNextRow: gra SRD += inc(upper)
_buffer_store_b128 v[200:203], v134, s[sgprSrdD:sgprSrdD+3], 0, offen, offset:0,  glc slc // store D
s_mul_i32 s56, s[sgprStrideD1J], 40                // scale StrideD *= numRows(5) * bpe
s_add_u32  s[sgprSrdD+0], s[sgprSrdD+0], s56       // incToNextRow: gra SRD += inc(lower)
s_addc_u32  s[sgprSrdD+1], s[sgprSrdD+1], 0        // incToNextRow: gra SRD += inc(upper)
_buffer_store_b128 v[204:207], v134, s[sgprSrdD:sgprSrdD+3], 0, offen, offset:0,  glc slc // store D
s_lshl_b32  s56, s[sgprStrideD1J], 3               // incToNextRow: Scale by BPE
s_add_u32  s[sgprSrdD+0], s[sgprSrdD+0], s56       // incToNextRow: gra SRD += inc(lower)
s_addc_u32  s[sgprSrdD+1], s[sgprSrdD+1], 0        // incToNextRow: gra SRD += inc(upper)
_buffer_store_b128 v[208:211], v134, s[sgprSrdD:sgprSrdD+3], 0, offen, offset:0,  glc slc // store D
s_lshl_b32  s56, s[sgprStrideD1J], 3               // incToNextRow: Scale by BPE
s_add_u32  s[sgprSrdD+0], s[sgprSrdD+0], s56       // incToNextRow: gra SRD += inc(lower)
s_addc_u32  s[sgprSrdD+1], s[sgprSrdD+1], 0        // incToNextRow: gra SRD += inc(upper)
_buffer_store_b128 v[212:215], v134, s[sgprSrdD:sgprSrdD+3], 0, offen, offset:0,  glc slc // store D
s_lshl_b32  s56, s[sgprStrideD1J], 3               // incToNextRow: Scale by BPE
s_add_u32  s[sgprSrdD+0], s[sgprSrdD+0], s56       // incToNextRow: gra SRD += inc(lower)
s_addc_u32  s[sgprSrdD+1], s[sgprSrdD+1], 0        // incToNextRow: gra SRD += inc(upper)
_buffer_store_b128 v[216:219], v134, s[sgprSrdD:sgprSrdD+3], 0, offen, offset:0,  glc slc // store D
s_mul_i32 s56, s[sgprStrideD1J], 40                // scale StrideD *= numRows(5) * bpe
s_add_u32  s[sgprSrdD+0], s[sgprSrdD+0], s56       // incToNextRow: gra SRD += inc(lower)
s_addc_u32  s[sgprSrdD+1], s[sgprSrdD+1], 0        // incToNextRow: gra SRD += inc(upper)
_buffer_store_b128 v[220:223], v134, s[sgprSrdD:sgprSrdD+3], 0, offen, offset:0,  glc slc // store D
s_lshl_b32  s56, s[sgprStrideD1J], 3               // incToNextRow: Scale by BPE
s_add_u32  s[sgprSrdD+0], s[sgprSrdD+0], s56       // incToNextRow: gra SRD += inc(lower)
s_addc_u32  s[sgprSrdD+1], s[sgprSrdD+1], 0        // incToNextRow: gra SRD += inc(upper)
_buffer_store_b128 v[224:227], v134, s[sgprSrdD:sgprSrdD+3], 0, offen, offset:0,  glc slc // store D
s_lshl_b32  s56, s[sgprStrideD1J], 3               // incToNextRow: Scale by BPE
s_add_u32  s[sgprSrdD+0], s[sgprSrdD+0], s56       // incToNextRow: gra SRD += inc(lower)
s_addc_u32  s[sgprSrdD+1], s[sgprSrdD+1], 0        // incToNextRow: gra SRD += inc(upper)
_buffer_store_b128 v[228:231], v134, s[sgprSrdD:sgprSrdD+3], 0, offen, offset:0,  glc slc // store D
s_lshl_b32  s56, s[sgprStrideD1J], 3               // incToNextRow: Scale by BPE
s_add_u32  s[sgprSrdD+0], s[sgprSrdD+0], s56       // incToNextRow: gra SRD += inc(lower)
s_addc_u32  s[sgprSrdD+1], s[sgprSrdD+1], 0        // incToNextRow: gra SRD += inc(upper)
_buffer_store_b128 v[232:235], v134, s[sgprSrdD:sgprSrdD+3], 0, offen, offset:0,  glc slc // store D
s_mul_i32 s56, s[sgprStrideD1J], 40                // scale StrideD *= numRows(5) * bpe
s_add_u32  s[sgprSrdD+0], s[sgprSrdD+0], s56       // incToNextRow: gra SRD += inc(lower)
s_addc_u32  s[sgprSrdD+1], s[sgprSrdD+1], 0        // incToNextRow: gra SRD += inc(upper)
_buffer_store_b128 v[236:239], v134, s[sgprSrdD:sgprSrdD+3], 0, offen, offset:0,  glc slc // store D
s_lshl_b32  s56, s[sgprStrideD1J], 3               // incToNextRow: Scale by BPE
s_add_u32  s[sgprSrdD+0], s[sgprSrdD+0], s56       // incToNextRow: gra SRD += inc(lower)
s_addc_u32  s[sgprSrdD+1], s[sgprSrdD+1], 0        // incToNextRow: gra SRD += inc(upper)
_buffer_store_b128 v[240:243], v134, s[sgprSrdD:sgprSrdD+3], 0, offen, offset:0,  glc slc // store D
s_lshl_b32  s56, s[sgprStrideD1J], 3               // incToNextRow: Scale by BPE
s_add_u32  s[sgprSrdD+0], s[sgprSrdD+0], s56       // incToNextRow: gra SRD += inc(lower)
s_addc_u32  s[sgprSrdD+1], s[sgprSrdD+1], 0        // incToNextRow: gra SRD += inc(upper)
_buffer_store_b128 v[244:247], v134, s[sgprSrdD:sgprSrdD+3], 0, offen, offset:0,  glc slc // store D
s_lshl_b32  s56, s[sgprStrideD1J], 3               // incToNextRow: Scale by BPE
s_add_u32  s[sgprSrdD+0], s[sgprSrdD+0], s56       // incToNextRow: gra SRD += inc(lower)
s_addc_u32  s[sgprSrdD+1], s[sgprSrdD+1], 0        // incToNextRow: gra SRD += inc(upper)
_buffer_store_b128 v[248:251], v134, s[sgprSrdD:sgprSrdD+3], 0, offen, offset:0,  glc slc // store D
s_mul_i32 s56, s[sgprStrideD1J], 40                // scale StrideD *= numRows(5) * bpe
s_add_u32  s[sgprSrdD+0], s[sgprSrdD+0], s56       // incToNextRow: gra SRD += inc(lower)
s_addc_u32  s[sgprSrdD+1], s[sgprSrdD+1], 0        // incToNextRow: gra SRD += inc(upper)
_buffer_store_b128 v[252:255], v134, s[sgprSrdD:sgprSrdD+3], 0, offen, offset:0,  glc slc // store D
s_nop 0                                            // 1 wait state required when next inst writes vgprs held by previous dwordx4 store inst
/* optSingleColVgpr=1 optSharedColVgpr=0 optSGPRUsage=BufferLoad_Mask optSrdIncForRow=1 */
s_sleep 3 // optimization: sync and wait
s_barrier

/******************************************/
/* Global Write Alpha Batch #1 (d1,d0,vc1,vc0) = */
/*    (7,0,1,0:vw2); (7,0,2,0:vw2); (7,0,3,0:vw2) */
/******************************************/

/* calc coords, apply mask, and issue loads (if necessary) */
/* (d1,vc1,d0,vc0)=(7,1,0,0) */
/* (d1,vc1,d0,vc0)=(7,2,0,0) */
	;; [unrolled: 1-line block ×3, first 2 shown]

/* rC *= alpha batchElements=[(7, 0, 1, 0), (7, 0, 2, 0), (7, 0, 3, 0)] */
v_mul_f32 v132, s[sgprAlpha+0], v[vgprValuC+45] // 
v_mul_f32 v133, s[sgprAlpha+1], v[vgprValuC+45] // 
v_fma_f32 v[vgprValuC+136], s[sgprAlpha+1], -v[vgprValuC+109], v132
v_fma_f32 v[vgprValuC+136 +1], s[sgprAlpha+0], v[vgprValuC+109], v133
v_mul_f32 v132, s[sgprAlpha+0], v[vgprValuC+61] // 
v_mul_f32 v133, s[sgprAlpha+1], v[vgprValuC+61] // 
v_fma_f32 v[vgprValuC+138], s[sgprAlpha+1], -v[vgprValuC+125], v132
v_fma_f32 v[vgprValuC+138 +1], s[sgprAlpha+0], v[vgprValuC+125], v133
	;; [unrolled: 4-line block ×6, first 2 shown]

/* apply mask, calc new C and issue writes */
s_lshl_b32  s56, s[sgprStrideD1J], 3               // incToNextRow: Scale by BPE
s_add_u32  s[sgprSrdD+0], s[sgprSrdD+0], s56       // incToNextRow: gra SRD += inc(lower)
s_addc_u32  s[sgprSrdD+1], s[sgprSrdD+1], 0        // incToNextRow: gra SRD += inc(upper)
_buffer_store_b128 v[136:139], v134, s[sgprSrdD:sgprSrdD+3], 0, offen, offset:0,  glc slc // store D
s_lshl_b32  s56, s[sgprStrideD1J], 3               // incToNextRow: Scale by BPE
s_add_u32  s[sgprSrdD+0], s[sgprSrdD+0], s56       // incToNextRow: gra SRD += inc(lower)
s_addc_u32  s[sgprSrdD+1], s[sgprSrdD+1], 0        // incToNextRow: gra SRD += inc(upper)
_buffer_store_b128 v[140:143], v134, s[sgprSrdD:sgprSrdD+3], 0, offen, offset:0,  glc slc // store D
	;; [unrolled: 4-line block ×3, first 2 shown]
s_nop 0                                            // 1 wait state required when next inst writes vgprs held by previous dwordx4 store inst
s_branch label_GW_End_106                          // jump to end
GW_B0_E1_98:

/* edge=1, allocate 6 sgpr. perBatchTmpS=4 perBatchMaskS=2 perElementMaskS=0 elementsPerBatch=39 */
/* optSingleColVgpr=0 optSharedColVgpr=0 optSGPRUsage=BufferLoad_Edge_Mask optSrdIncForRow=0 */
s_sleep 3 // optimization: sync and wait
s_barrier

/******************************************/
/* Global Write Alpha Edge Batch #0 (d1,d0,vc1,vc0) = */
/*    (0,0,0,0:vw1); (0,0,0,1:vw1); (0,0,1,0:vw1); (0,0,1,1:vw1); (0,0,2,0:vw1); (0,0,2,1:vw1); (0,0,3,0:vw1); (0,0,3,1:vw1); (1,0,0,0:vw1); (1,0,0,1:vw1); (1,0,1,0:vw1); (1,0,1,1:vw1); (1,0,2,0:vw1); (1,0,2,1:vw1); (1,0,3,0:vw1); (1,0,3,1:vw1); (2,0,0,0:vw1); (2,0,0,1:vw1); (2,0,1,0:vw1); (2,0,1,1:vw1); (2,0,2,0:vw1); (2,0,2,1:vw1); (2,0,3,0:vw1); (2,0,3,1:vw1); (3,0,0,0:vw1); (3,0,0,1:vw1); (3,0,1,0:vw1); (3,0,1,1:vw1); (3,0,2,0:vw1); (3,0,2,1:vw1); (3,0,3,0:vw1); (3,0,3,1:vw1); (4,0,0,0:vw1); (4,0,0,1:vw1); (4,0,1,0:vw1); (4,0,1,1:vw1); (4,0,2,0:vw1); (4,0,2,1:vw1); (4,0,3,0:vw1) */
/******************************************/

/* calc coords, apply mask, and issue loads (if necessary) */
/* (d1,vc1,d0,vc0)=(0,0,0,0) */
v_cmp_lt_u32 s[56:57], v128, s[sgprSizeI]          // coord0 < size0
v_cmp_lt_u32 s[60:61], v129, s[sgprSizeJ]          // coord1 < size1
s_and_b64 s[60:61], s[56:57], s[60:61]             // in0 && in1
_v_add_lshl_u32 v134, v131, v128, 0x3              // scaleToBpe: accumulate d0 lower and *= bpe into Cin addr
v_cndmask_b32 v134, -1, v134, s[60:61]             // LDD clip if OOB. offset
/* (d1,vc1,d0,vc0)=(0,0,0,1) */
_v_add_co_u32 v132, vcc, v128, 1                   // coord0.1: coord0 += d0*sg0*VW + vc0
v_cmp_lt_u32 s[56:57], v132, s[sgprSizeI]          // coord0 < size0
v_cmp_lt_u32 s[60:61], v129, s[sgprSizeJ]          // coord1 < size1
s_and_b64 s[60:61], s[56:57], s[60:61]             // in0 && in1
_v_add_lshl_u32 v135, v131, v132, 0x3              // scaleToBpe: accumulate d0 lower and *= bpe into Cin addr
v_cndmask_b32 v135, -1, v135, s[60:61]             // LDD clip if OOB. offset
/* (d1,vc1,d0,vc0)=(0,1,0,0) */
_v_add_co_u32 v129, vcc, v129, 1                   // coord1.1: coord1Vgpr += d1*sg1*VW + vc1

/* Fix for UseInitialStridesCD, emitAddressSetupCode */
_v_add_u32 v130, v130, s[sgprStrideC1J]            // ROWINC- Move cinRowPtr to next row
_v_add_u32 v131, v131, s[sgprStrideD1J]            // Move coutRowPtr to next row
v_cmp_lt_u32 s[56:57], v128, s[sgprSizeI]          // coord0 < size0
v_cmp_lt_u32 s[60:61], v129, s[sgprSizeJ]          // coord1 < size1
s_and_b64 s[60:61], s[56:57], s[60:61]             // in0 && in1
_v_add_lshl_u32 v140, v131, v128, 0x3              // scaleToBpe: accumulate d0 lower and *= bpe into Cin addr
v_cndmask_b32 v140, -1, v140, s[60:61]             // LDD clip if OOB. offset
/* (d1,vc1,d0,vc0)=(0,1,0,1) */
_v_add_co_u32 v132, vcc, v128, 1                   // coord0.1: coord0 += d0*sg0*VW + vc0
v_cmp_lt_u32 s[56:57], v132, s[sgprSizeI]          // coord0 < size0
v_cmp_lt_u32 s[60:61], v129, s[sgprSizeJ]          // coord1 < size1
s_and_b64 s[60:61], s[56:57], s[60:61]             // in0 && in1
_v_add_lshl_u32 v141, v131, v132, 0x3              // scaleToBpe: accumulate d0 lower and *= bpe into Cin addr
v_cndmask_b32 v141, -1, v141, s[60:61]             // LDD clip if OOB. offset
/* (d1,vc1,d0,vc0)=(0,2,0,0) */
_v_add_co_u32 v129, vcc, v129, 1                   // coord1.1: coord1Vgpr += d1*sg1*VW + vc1

/* Fix for UseInitialStridesCD, emitAddressSetupCode */
_v_add_u32 v130, v130, s[sgprStrideC1J]            // ROWINC- Move cinRowPtr to next row
_v_add_u32 v131, v131, s[sgprStrideD1J]            // Move coutRowPtr to next row
	;; [unrolled: 18-line block ×3, first 2 shown]
v_cmp_lt_u32 s[56:57], v128, s[sgprSizeI]          // coord0 < size0
v_cmp_lt_u32 s[60:61], v129, s[sgprSizeJ]          // coord1 < size1
s_and_b64 s[60:61], s[56:57], s[60:61]             // in0 && in1
_v_add_lshl_u32 v152, v131, v128, 0x3              // scaleToBpe: accumulate d0 lower and *= bpe into Cin addr
v_cndmask_b32 v152, -1, v152, s[60:61]             // LDD clip if OOB. offset
/* (d1,vc1,d0,vc0)=(0,3,0,1) */
_v_add_co_u32 v132, vcc, v128, 1                   // coord0.1: coord0 += d0*sg0*VW + vc0
v_cmp_lt_u32 s[56:57], v132, s[sgprSizeI]          // coord0 < size0
v_cmp_lt_u32 s[60:61], v129, s[sgprSizeJ]          // coord1 < size1
s_and_b64 s[60:61], s[56:57], s[60:61]             // in0 && in1
_v_add_lshl_u32 v153, v131, v132, 0x3              // scaleToBpe: accumulate d0 lower and *= bpe into Cin addr
v_cndmask_b32 v153, -1, v153, s[60:61]             // LDD clip if OOB. offset
/* (d1,vc1,d0,vc0)=(1,0,0,0) */
_v_add_co_u32 v129, vcc, v129, 5                   // coord1.1: coord1Vgpr += d1*sg1*VW + vc1

/* Fix for UseInitialStridesCD, emitAddressSetupCode */
s_mul_i32 s56, s[sgprStrideC1J], 5                 // scale stride
_v_add_u32 v130, v130, s56                         // ROWINC- Move cinRowPtr to next row
s_mul_i32 s56, s[sgprStrideD1J], 5                 // scale stride
_v_add_u32 v131, v131, s56                         // Move coutRowPtr to next row
v_cmp_lt_u32 s[56:57], v128, s[sgprSizeI]          // coord0 < size0
v_cmp_lt_u32 s[60:61], v129, s[sgprSizeJ]          // coord1 < size1
s_and_b64 s[60:61], s[56:57], s[60:61]             // in0 && in1
_v_add_lshl_u32 v158, v131, v128, 0x3              // scaleToBpe: accumulate d0 lower and *= bpe into Cin addr
v_cndmask_b32 v158, -1, v158, s[60:61]             // LDD clip if OOB. offset
/* (d1,vc1,d0,vc0)=(1,0,0,1) */
_v_add_co_u32 v132, vcc, v128, 1                   // coord0.1: coord0 += d0*sg0*VW + vc0
v_cmp_lt_u32 s[56:57], v132, s[sgprSizeI]          // coord0 < size0
v_cmp_lt_u32 s[60:61], v129, s[sgprSizeJ]          // coord1 < size1
s_and_b64 s[60:61], s[56:57], s[60:61]             // in0 && in1
_v_add_lshl_u32 v159, v131, v132, 0x3              // scaleToBpe: accumulate d0 lower and *= bpe into Cin addr
v_cndmask_b32 v159, -1, v159, s[60:61]             // LDD clip if OOB. offset
/* (d1,vc1,d0,vc0)=(1,1,0,0) */
_v_add_co_u32 v129, vcc, v129, 1                   // coord1.1: coord1Vgpr += d1*sg1*VW + vc1

/* Fix for UseInitialStridesCD, emitAddressSetupCode */
_v_add_u32 v130, v130, s[sgprStrideC1J]            // ROWINC- Move cinRowPtr to next row
_v_add_u32 v131, v131, s[sgprStrideD1J]            // Move coutRowPtr to next row
v_cmp_lt_u32 s[56:57], v128, s[sgprSizeI]          // coord0 < size0
v_cmp_lt_u32 s[60:61], v129, s[sgprSizeJ]          // coord1 < size1
s_and_b64 s[60:61], s[56:57], s[60:61]             // in0 && in1
_v_add_lshl_u32 v164, v131, v128, 0x3              // scaleToBpe: accumulate d0 lower and *= bpe into Cin addr
v_cndmask_b32 v164, -1, v164, s[60:61]             // LDD clip if OOB. offset
/* (d1,vc1,d0,vc0)=(1,1,0,1) */
_v_add_co_u32 v132, vcc, v128, 1                   // coord0.1: coord0 += d0*sg0*VW + vc0
v_cmp_lt_u32 s[56:57], v132, s[sgprSizeI]          // coord0 < size0
v_cmp_lt_u32 s[60:61], v129, s[sgprSizeJ]          // coord1 < size1
s_and_b64 s[60:61], s[56:57], s[60:61]             // in0 && in1
_v_add_lshl_u32 v165, v131, v132, 0x3              // scaleToBpe: accumulate d0 lower and *= bpe into Cin addr
v_cndmask_b32 v165, -1, v165, s[60:61]             // LDD clip if OOB. offset
/* (d1,vc1,d0,vc0)=(1,2,0,0) */
_v_add_co_u32 v129, vcc, v129, 1                   // coord1.1: coord1Vgpr += d1*sg1*VW + vc1

/* Fix for UseInitialStridesCD, emitAddressSetupCode */
_v_add_u32 v130, v130, s[sgprStrideC1J]            // ROWINC- Move cinRowPtr to next row
_v_add_u32 v131, v131, s[sgprStrideD1J]            // Move coutRowPtr to next row
	;; [unrolled: 18-line block ×3, first 2 shown]
v_cmp_lt_u32 s[56:57], v128, s[sgprSizeI]          // coord0 < size0
v_cmp_lt_u32 s[60:61], v129, s[sgprSizeJ]          // coord1 < size1
s_and_b64 s[60:61], s[56:57], s[60:61]             // in0 && in1
_v_add_lshl_u32 v176, v131, v128, 0x3              // scaleToBpe: accumulate d0 lower and *= bpe into Cin addr
v_cndmask_b32 v176, -1, v176, s[60:61]             // LDD clip if OOB. offset
/* (d1,vc1,d0,vc0)=(1,3,0,1) */
_v_add_co_u32 v132, vcc, v128, 1                   // coord0.1: coord0 += d0*sg0*VW + vc0
v_cmp_lt_u32 s[56:57], v132, s[sgprSizeI]          // coord0 < size0
v_cmp_lt_u32 s[60:61], v129, s[sgprSizeJ]          // coord1 < size1
s_and_b64 s[60:61], s[56:57], s[60:61]             // in0 && in1
_v_add_lshl_u32 v177, v131, v132, 0x3              // scaleToBpe: accumulate d0 lower and *= bpe into Cin addr
v_cndmask_b32 v177, -1, v177, s[60:61]             // LDD clip if OOB. offset
/* (d1,vc1,d0,vc0)=(2,0,0,0) */
_v_add_co_u32 v129, vcc, v129, 5                   // coord1.1: coord1Vgpr += d1*sg1*VW + vc1

/* Fix for UseInitialStridesCD, emitAddressSetupCode */
s_mul_i32 s56, s[sgprStrideC1J], 5                 // scale stride
_v_add_u32 v130, v130, s56                         // ROWINC- Move cinRowPtr to next row
s_mul_i32 s56, s[sgprStrideD1J], 5                 // scale stride
_v_add_u32 v131, v131, s56                         // Move coutRowPtr to next row
v_cmp_lt_u32 s[56:57], v128, s[sgprSizeI]          // coord0 < size0
v_cmp_lt_u32 s[60:61], v129, s[sgprSizeJ]          // coord1 < size1
s_and_b64 s[60:61], s[56:57], s[60:61]             // in0 && in1
_v_add_lshl_u32 v182, v131, v128, 0x3              // scaleToBpe: accumulate d0 lower and *= bpe into Cin addr
v_cndmask_b32 v182, -1, v182, s[60:61]             // LDD clip if OOB. offset
/* (d1,vc1,d0,vc0)=(2,0,0,1) */
_v_add_co_u32 v132, vcc, v128, 1                   // coord0.1: coord0 += d0*sg0*VW + vc0
v_cmp_lt_u32 s[56:57], v132, s[sgprSizeI]          // coord0 < size0
v_cmp_lt_u32 s[60:61], v129, s[sgprSizeJ]          // coord1 < size1
s_and_b64 s[60:61], s[56:57], s[60:61]             // in0 && in1
_v_add_lshl_u32 v183, v131, v132, 0x3              // scaleToBpe: accumulate d0 lower and *= bpe into Cin addr
v_cndmask_b32 v183, -1, v183, s[60:61]             // LDD clip if OOB. offset
/* (d1,vc1,d0,vc0)=(2,1,0,0) */
_v_add_co_u32 v129, vcc, v129, 1                   // coord1.1: coord1Vgpr += d1*sg1*VW + vc1

/* Fix for UseInitialStridesCD, emitAddressSetupCode */
_v_add_u32 v130, v130, s[sgprStrideC1J]            // ROWINC- Move cinRowPtr to next row
_v_add_u32 v131, v131, s[sgprStrideD1J]            // Move coutRowPtr to next row
v_cmp_lt_u32 s[56:57], v128, s[sgprSizeI]          // coord0 < size0
v_cmp_lt_u32 s[60:61], v129, s[sgprSizeJ]          // coord1 < size1
s_and_b64 s[60:61], s[56:57], s[60:61]             // in0 && in1
_v_add_lshl_u32 v190, v131, v128, 0x3              // scaleToBpe: accumulate d0 lower and *= bpe into Cin addr
v_cndmask_b32 v190, -1, v190, s[60:61]             // LDD clip if OOB. offset
/* (d1,vc1,d0,vc0)=(2,1,0,1) */
_v_add_co_u32 v132, vcc, v128, 1                   // coord0.1: coord0 += d0*sg0*VW + vc0
v_cmp_lt_u32 s[56:57], v132, s[sgprSizeI]          // coord0 < size0
v_cmp_lt_u32 s[60:61], v129, s[sgprSizeJ]          // coord1 < size1
s_and_b64 s[60:61], s[56:57], s[60:61]             // in0 && in1
_v_add_lshl_u32 v191, v131, v132, 0x3              // scaleToBpe: accumulate d0 lower and *= bpe into Cin addr
v_cndmask_b32 v191, -1, v191, s[60:61]             // LDD clip if OOB. offset
/* (d1,vc1,d0,vc0)=(2,2,0,0) */
_v_add_co_u32 v129, vcc, v129, 1                   // coord1.1: coord1Vgpr += d1*sg1*VW + vc1

/* Fix for UseInitialStridesCD, emitAddressSetupCode */
_v_add_u32 v130, v130, s[sgprStrideC1J]            // ROWINC- Move cinRowPtr to next row
_v_add_u32 v131, v131, s[sgprStrideD1J]            // Move coutRowPtr to next row
	;; [unrolled: 18-line block ×3, first 2 shown]
v_cmp_lt_u32 s[56:57], v128, s[sgprSizeI]          // coord0 < size0
v_cmp_lt_u32 s[60:61], v129, s[sgprSizeJ]          // coord1 < size1
s_and_b64 s[60:61], s[56:57], s[60:61]             // in0 && in1
_v_add_lshl_u32 v202, v131, v128, 0x3              // scaleToBpe: accumulate d0 lower and *= bpe into Cin addr
v_cndmask_b32 v202, -1, v202, s[60:61]             // LDD clip if OOB. offset
/* (d1,vc1,d0,vc0)=(2,3,0,1) */
_v_add_co_u32 v132, vcc, v128, 1                   // coord0.1: coord0 += d0*sg0*VW + vc0
v_cmp_lt_u32 s[56:57], v132, s[sgprSizeI]          // coord0 < size0
v_cmp_lt_u32 s[60:61], v129, s[sgprSizeJ]          // coord1 < size1
s_and_b64 s[60:61], s[56:57], s[60:61]             // in0 && in1
_v_add_lshl_u32 v203, v131, v132, 0x3              // scaleToBpe: accumulate d0 lower and *= bpe into Cin addr
v_cndmask_b32 v203, -1, v203, s[60:61]             // LDD clip if OOB. offset
/* (d1,vc1,d0,vc0)=(3,0,0,0) */
_v_add_co_u32 v129, vcc, v129, 5                   // coord1.1: coord1Vgpr += d1*sg1*VW + vc1

/* Fix for UseInitialStridesCD, emitAddressSetupCode */
s_mul_i32 s56, s[sgprStrideC1J], 5                 // scale stride
_v_add_u32 v130, v130, s56                         // ROWINC- Move cinRowPtr to next row
s_mul_i32 s56, s[sgprStrideD1J], 5                 // scale stride
_v_add_u32 v131, v131, s56                         // Move coutRowPtr to next row
v_cmp_lt_u32 s[56:57], v128, s[sgprSizeI]          // coord0 < size0
v_cmp_lt_u32 s[60:61], v129, s[sgprSizeJ]          // coord1 < size1
s_and_b64 s[60:61], s[56:57], s[60:61]             // in0 && in1
_v_add_lshl_u32 v208, v131, v128, 0x3              // scaleToBpe: accumulate d0 lower and *= bpe into Cin addr
v_cndmask_b32 v208, -1, v208, s[60:61]             // LDD clip if OOB. offset
/* (d1,vc1,d0,vc0)=(3,0,0,1) */
_v_add_co_u32 v132, vcc, v128, 1                   // coord0.1: coord0 += d0*sg0*VW + vc0
v_cmp_lt_u32 s[56:57], v132, s[sgprSizeI]          // coord0 < size0
v_cmp_lt_u32 s[60:61], v129, s[sgprSizeJ]          // coord1 < size1
s_and_b64 s[60:61], s[56:57], s[60:61]             // in0 && in1
_v_add_lshl_u32 v209, v131, v132, 0x3              // scaleToBpe: accumulate d0 lower and *= bpe into Cin addr
v_cndmask_b32 v209, -1, v209, s[60:61]             // LDD clip if OOB. offset
/* (d1,vc1,d0,vc0)=(3,1,0,0) */
_v_add_co_u32 v129, vcc, v129, 1                   // coord1.1: coord1Vgpr += d1*sg1*VW + vc1

/* Fix for UseInitialStridesCD, emitAddressSetupCode */
_v_add_u32 v130, v130, s[sgprStrideC1J]            // ROWINC- Move cinRowPtr to next row
_v_add_u32 v131, v131, s[sgprStrideD1J]            // Move coutRowPtr to next row
v_cmp_lt_u32 s[56:57], v128, s[sgprSizeI]          // coord0 < size0
v_cmp_lt_u32 s[60:61], v129, s[sgprSizeJ]          // coord1 < size1
s_and_b64 s[60:61], s[56:57], s[60:61]             // in0 && in1
_v_add_lshl_u32 v214, v131, v128, 0x3              // scaleToBpe: accumulate d0 lower and *= bpe into Cin addr
v_cndmask_b32 v214, -1, v214, s[60:61]             // LDD clip if OOB. offset
/* (d1,vc1,d0,vc0)=(3,1,0,1) */
_v_add_co_u32 v132, vcc, v128, 1                   // coord0.1: coord0 += d0*sg0*VW + vc0
v_cmp_lt_u32 s[56:57], v132, s[sgprSizeI]          // coord0 < size0
v_cmp_lt_u32 s[60:61], v129, s[sgprSizeJ]          // coord1 < size1
s_and_b64 s[60:61], s[56:57], s[60:61]             // in0 && in1
_v_add_lshl_u32 v215, v131, v132, 0x3              // scaleToBpe: accumulate d0 lower and *= bpe into Cin addr
v_cndmask_b32 v215, -1, v215, s[60:61]             // LDD clip if OOB. offset
/* (d1,vc1,d0,vc0)=(3,2,0,0) */
_v_add_co_u32 v129, vcc, v129, 1                   // coord1.1: coord1Vgpr += d1*sg1*VW + vc1

/* Fix for UseInitialStridesCD, emitAddressSetupCode */
_v_add_u32 v130, v130, s[sgprStrideC1J]            // ROWINC- Move cinRowPtr to next row
_v_add_u32 v131, v131, s[sgprStrideD1J]            // Move coutRowPtr to next row
	;; [unrolled: 18-line block ×3, first 2 shown]
v_cmp_lt_u32 s[56:57], v128, s[sgprSizeI]          // coord0 < size0
v_cmp_lt_u32 s[60:61], v129, s[sgprSizeJ]          // coord1 < size1
s_and_b64 s[60:61], s[56:57], s[60:61]             // in0 && in1
_v_add_lshl_u32 v226, v131, v128, 0x3              // scaleToBpe: accumulate d0 lower and *= bpe into Cin addr
v_cndmask_b32 v226, -1, v226, s[60:61]             // LDD clip if OOB. offset
/* (d1,vc1,d0,vc0)=(3,3,0,1) */
_v_add_co_u32 v132, vcc, v128, 1                   // coord0.1: coord0 += d0*sg0*VW + vc0
v_cmp_lt_u32 s[56:57], v132, s[sgprSizeI]          // coord0 < size0
v_cmp_lt_u32 s[60:61], v129, s[sgprSizeJ]          // coord1 < size1
s_and_b64 s[60:61], s[56:57], s[60:61]             // in0 && in1
_v_add_lshl_u32 v227, v131, v132, 0x3              // scaleToBpe: accumulate d0 lower and *= bpe into Cin addr
v_cndmask_b32 v227, -1, v227, s[60:61]             // LDD clip if OOB. offset
/* (d1,vc1,d0,vc0)=(4,0,0,0) */
_v_add_co_u32 v129, vcc, v129, 5                   // coord1.1: coord1Vgpr += d1*sg1*VW + vc1

/* Fix for UseInitialStridesCD, emitAddressSetupCode */
s_mul_i32 s56, s[sgprStrideC1J], 5                 // scale stride
_v_add_u32 v130, v130, s56                         // ROWINC- Move cinRowPtr to next row
s_mul_i32 s56, s[sgprStrideD1J], 5                 // scale stride
_v_add_u32 v131, v131, s56                         // Move coutRowPtr to next row
v_cmp_lt_u32 s[56:57], v128, s[sgprSizeI]          // coord0 < size0
v_cmp_lt_u32 s[60:61], v129, s[sgprSizeJ]          // coord1 < size1
s_and_b64 s[60:61], s[56:57], s[60:61]             // in0 && in1
_v_add_lshl_u32 v232, v131, v128, 0x3              // scaleToBpe: accumulate d0 lower and *= bpe into Cin addr
v_cndmask_b32 v232, -1, v232, s[60:61]             // LDD clip if OOB. offset
/* (d1,vc1,d0,vc0)=(4,0,0,1) */
_v_add_co_u32 v132, vcc, v128, 1                   // coord0.1: coord0 += d0*sg0*VW + vc0
v_cmp_lt_u32 s[56:57], v132, s[sgprSizeI]          // coord0 < size0
v_cmp_lt_u32 s[60:61], v129, s[sgprSizeJ]          // coord1 < size1
s_and_b64 s[60:61], s[56:57], s[60:61]             // in0 && in1
_v_add_lshl_u32 v233, v131, v132, 0x3              // scaleToBpe: accumulate d0 lower and *= bpe into Cin addr
v_cndmask_b32 v233, -1, v233, s[60:61]             // LDD clip if OOB. offset
/* (d1,vc1,d0,vc0)=(4,1,0,0) */
_v_add_co_u32 v129, vcc, v129, 1                   // coord1.1: coord1Vgpr += d1*sg1*VW + vc1

/* Fix for UseInitialStridesCD, emitAddressSetupCode */
_v_add_u32 v130, v130, s[sgprStrideC1J]            // ROWINC- Move cinRowPtr to next row
_v_add_u32 v131, v131, s[sgprStrideD1J]            // Move coutRowPtr to next row
v_cmp_lt_u32 s[56:57], v128, s[sgprSizeI]          // coord0 < size0
v_cmp_lt_u32 s[60:61], v129, s[sgprSizeJ]          // coord1 < size1
s_and_b64 s[60:61], s[56:57], s[60:61]             // in0 && in1
_v_add_lshl_u32 v238, v131, v128, 0x3              // scaleToBpe: accumulate d0 lower and *= bpe into Cin addr
v_cndmask_b32 v238, -1, v238, s[60:61]             // LDD clip if OOB. offset
/* (d1,vc1,d0,vc0)=(4,1,0,1) */
_v_add_co_u32 v132, vcc, v128, 1                   // coord0.1: coord0 += d0*sg0*VW + vc0
v_cmp_lt_u32 s[56:57], v132, s[sgprSizeI]          // coord0 < size0
v_cmp_lt_u32 s[60:61], v129, s[sgprSizeJ]          // coord1 < size1
s_and_b64 s[60:61], s[56:57], s[60:61]             // in0 && in1
_v_add_lshl_u32 v239, v131, v132, 0x3              // scaleToBpe: accumulate d0 lower and *= bpe into Cin addr
v_cndmask_b32 v239, -1, v239, s[60:61]             // LDD clip if OOB. offset
/* (d1,vc1,d0,vc0)=(4,2,0,0) */
_v_add_co_u32 v129, vcc, v129, 1                   // coord1.1: coord1Vgpr += d1*sg1*VW + vc1

/* Fix for UseInitialStridesCD, emitAddressSetupCode */
_v_add_u32 v130, v130, s[sgprStrideC1J]            // ROWINC- Move cinRowPtr to next row
_v_add_u32 v131, v131, s[sgprStrideD1J]            // Move coutRowPtr to next row
	;; [unrolled: 18-line block ×3, first 2 shown]
v_cmp_lt_u32 s[56:57], v128, s[sgprSizeI]          // coord0 < size0
v_cmp_lt_u32 s[60:61], v129, s[sgprSizeJ]          // coord1 < size1
s_and_b64 s[60:61], s[56:57], s[60:61]             // in0 && in1
_v_add_lshl_u32 v250, v131, v128, 0x3              // scaleToBpe: accumulate d0 lower and *= bpe into Cin addr
v_cndmask_b32 v250, -1, v250, s[60:61]             // LDD clip if OOB. offset

/* rC *= alpha batchElements=[(0, 0, 0, 0), (0, 0, 0, 1), (0, 0, 1, 0), (0, 0, 1, 1), (0, 0, 2, 0), (0, 0, 2, 1), (0, 0, 3, 0), (0, 0, 3, 1), (1, 0, 0, 0), (1, 0, 0, 1), (1, 0, 1, 0), (1, 0, 1, 1), (1, 0, 2, 0), (1, 0, 2, 1), (1, 0, 3, 0), (1, 0, 3, 1), (2, 0, 0, 0), (2, 0, 0, 1), (2, 0, 1, 0), (2, 0, 1, 1), (2, 0, 2, 0), (2, 0, 2, 1), (2, 0, 3, 0), (2, 0, 3, 1), (3, 0, 0, 0), (3, 0, 0, 1), (3, 0, 1, 0), (3, 0, 1, 1), (3, 0, 2, 0), (3, 0, 2, 1), (3, 0, 3, 0), (3, 0, 3, 1), (4, 0, 0, 0), (4, 0, 0, 1), (4, 0, 1, 0), (4, 0, 1, 1), (4, 0, 2, 0), (4, 0, 2, 1), (4, 0, 3, 0)] */
v_mul_f32 v132, s[sgprAlpha+0], v[vgprValuC+0] // 
v_mul_f32 v133, s[sgprAlpha+1], v[vgprValuC+0] // 
v_fma_f32 v[vgprValuC+136], s[sgprAlpha+1], -v[vgprValuC+64], v132
v_fma_f32 v[vgprValuC+136 +1], s[sgprAlpha+0], v[vgprValuC+64], v133
v_mul_f32 v132, s[sgprAlpha+0], v[vgprValuC+16] // 
v_mul_f32 v133, s[sgprAlpha+1], v[vgprValuC+16] // 
v_fma_f32 v[vgprValuC+138], s[sgprAlpha+1], -v[vgprValuC+80], v132
v_fma_f32 v[vgprValuC+138 +1], s[sgprAlpha+0], v[vgprValuC+80], v133
	;; [unrolled: 4-line block ×39, first 2 shown]

/* apply mask, calc new C and issue writes */
_buffer_store_b64 v[136:137], v134, s[sgprSrdD:sgprSrdD+3], 0, offen, offset:0,  glc slc // store D
_buffer_store_b64 v[138:139], v135, s[sgprSrdD:sgprSrdD+3], 0, offen, offset:0,  glc slc // store D
	;; [unrolled: 1-line block ×39, first 2 shown]
s_nop 0                                            // 1 wait state required when next inst writes vgprs held by previous dwordx4 store inst
/* optSingleColVgpr=0 optSharedColVgpr=0 optSGPRUsage=BufferLoad_Edge_Mask optSrdIncForRow=0 */
s_sleep 3 // optimization: sync and wait
s_barrier

/******************************************/
/* Global Write Alpha Edge Batch #1 (d1,d0,vc1,vc0) = */
/*    (4,0,3,1:vw1); (5,0,0,0:vw1); (5,0,0,1:vw1); (5,0,1,0:vw1); (5,0,1,1:vw1); (5,0,2,0:vw1); (5,0,2,1:vw1); (5,0,3,0:vw1); (5,0,3,1:vw1); (6,0,0,0:vw1); (6,0,0,1:vw1); (6,0,1,0:vw1); (6,0,1,1:vw1); (6,0,2,0:vw1); (6,0,2,1:vw1); (6,0,3,0:vw1); (6,0,3,1:vw1); (7,0,0,0:vw1); (7,0,0,1:vw1); (7,0,1,0:vw1); (7,0,1,1:vw1); (7,0,2,0:vw1); (7,0,2,1:vw1); (7,0,3,0:vw1); (7,0,3,1:vw1) */
/******************************************/

/* calc coords, apply mask, and issue loads (if necessary) */
/* (d1,vc1,d0,vc0)=(4,3,0,1) */
_v_add_co_u32 v132, vcc, v128, 1                   // coord0.1: coord0 += d0*sg0*VW + vc0
v_cmp_lt_u32 s[56:57], v132, s[sgprSizeI]          // coord0 < size0
v_cmp_lt_u32 s[60:61], v129, s[sgprSizeJ]          // coord1 < size1
s_and_b64 s[60:61], s[56:57], s[60:61]             // in0 && in1
_v_add_lshl_u32 v134, v131, v132, 0x3              // scaleToBpe: accumulate d0 lower and *= bpe into Cin addr
v_cndmask_b32 v134, -1, v134, s[60:61]             // LDD clip if OOB. offset
/* (d1,vc1,d0,vc0)=(5,0,0,0) */
_v_add_co_u32 v129, vcc, v129, 5                   // coord1.1: coord1Vgpr += d1*sg1*VW + vc1

/* Fix for UseInitialStridesCD, emitAddressSetupCode */
s_mul_i32 s56, s[sgprStrideC1J], 5                 // scale stride
_v_add_u32 v130, v130, s56                         // ROWINC- Move cinRowPtr to next row
s_mul_i32 s56, s[sgprStrideD1J], 5                 // scale stride
_v_add_u32 v131, v131, s56                         // Move coutRowPtr to next row
v_cmp_lt_u32 s[56:57], v128, s[sgprSizeI]          // coord0 < size0
v_cmp_lt_u32 s[60:61], v129, s[sgprSizeJ]          // coord1 < size1
s_and_b64 s[60:61], s[56:57], s[60:61]             // in0 && in1
_v_add_lshl_u32 v135, v131, v128, 0x3              // scaleToBpe: accumulate d0 lower and *= bpe into Cin addr
v_cndmask_b32 v135, -1, v135, s[60:61]             // LDD clip if OOB. offset
/* (d1,vc1,d0,vc0)=(5,0,0,1) */
_v_add_co_u32 v132, vcc, v128, 1                   // coord0.1: coord0 += d0*sg0*VW + vc0
v_cmp_lt_u32 s[56:57], v132, s[sgprSizeI]          // coord0 < size0
v_cmp_lt_u32 s[60:61], v129, s[sgprSizeJ]          // coord1 < size1
s_and_b64 s[60:61], s[56:57], s[60:61]             // in0 && in1
_v_add_lshl_u32 v140, v131, v132, 0x3              // scaleToBpe: accumulate d0 lower and *= bpe into Cin addr
v_cndmask_b32 v140, -1, v140, s[60:61]             // LDD clip if OOB. offset
/* (d1,vc1,d0,vc0)=(5,1,0,0) */
_v_add_co_u32 v129, vcc, v129, 1                   // coord1.1: coord1Vgpr += d1*sg1*VW + vc1

/* Fix for UseInitialStridesCD, emitAddressSetupCode */
_v_add_u32 v130, v130, s[sgprStrideC1J]            // ROWINC- Move cinRowPtr to next row
_v_add_u32 v131, v131, s[sgprStrideD1J]            // Move coutRowPtr to next row
v_cmp_lt_u32 s[56:57], v128, s[sgprSizeI]          // coord0 < size0
v_cmp_lt_u32 s[60:61], v129, s[sgprSizeJ]          // coord1 < size1
s_and_b64 s[60:61], s[56:57], s[60:61]             // in0 && in1
_v_add_lshl_u32 v141, v131, v128, 0x3              // scaleToBpe: accumulate d0 lower and *= bpe into Cin addr
v_cndmask_b32 v141, -1, v141, s[60:61]             // LDD clip if OOB. offset
/* (d1,vc1,d0,vc0)=(5,1,0,1) */
_v_add_co_u32 v132, vcc, v128, 1                   // coord0.1: coord0 += d0*sg0*VW + vc0
v_cmp_lt_u32 s[56:57], v132, s[sgprSizeI]          // coord0 < size0
v_cmp_lt_u32 s[60:61], v129, s[sgprSizeJ]          // coord1 < size1
s_and_b64 s[60:61], s[56:57], s[60:61]             // in0 && in1
_v_add_lshl_u32 v146, v131, v132, 0x3              // scaleToBpe: accumulate d0 lower and *= bpe into Cin addr
v_cndmask_b32 v146, -1, v146, s[60:61]             // LDD clip if OOB. offset
/* (d1,vc1,d0,vc0)=(5,2,0,0) */
_v_add_co_u32 v129, vcc, v129, 1                   // coord1.1: coord1Vgpr += d1*sg1*VW + vc1

/* Fix for UseInitialStridesCD, emitAddressSetupCode */
_v_add_u32 v130, v130, s[sgprStrideC1J]            // ROWINC- Move cinRowPtr to next row
_v_add_u32 v131, v131, s[sgprStrideD1J]            // Move coutRowPtr to next row
	;; [unrolled: 18-line block ×3, first 2 shown]
v_cmp_lt_u32 s[56:57], v128, s[sgprSizeI]          // coord0 < size0
v_cmp_lt_u32 s[60:61], v129, s[sgprSizeJ]          // coord1 < size1
s_and_b64 s[60:61], s[56:57], s[60:61]             // in0 && in1
_v_add_lshl_u32 v153, v131, v128, 0x3              // scaleToBpe: accumulate d0 lower and *= bpe into Cin addr
v_cndmask_b32 v153, -1, v153, s[60:61]             // LDD clip if OOB. offset
/* (d1,vc1,d0,vc0)=(5,3,0,1) */
_v_add_co_u32 v132, vcc, v128, 1                   // coord0.1: coord0 += d0*sg0*VW + vc0
v_cmp_lt_u32 s[56:57], v132, s[sgprSizeI]          // coord0 < size0
v_cmp_lt_u32 s[60:61], v129, s[sgprSizeJ]          // coord1 < size1
s_and_b64 s[60:61], s[56:57], s[60:61]             // in0 && in1
_v_add_lshl_u32 v158, v131, v132, 0x3              // scaleToBpe: accumulate d0 lower and *= bpe into Cin addr
v_cndmask_b32 v158, -1, v158, s[60:61]             // LDD clip if OOB. offset
/* (d1,vc1,d0,vc0)=(6,0,0,0) */
_v_add_co_u32 v129, vcc, v129, 5                   // coord1.1: coord1Vgpr += d1*sg1*VW + vc1

/* Fix for UseInitialStridesCD, emitAddressSetupCode */
s_mul_i32 s56, s[sgprStrideC1J], 5                 // scale stride
_v_add_u32 v130, v130, s56                         // ROWINC- Move cinRowPtr to next row
s_mul_i32 s56, s[sgprStrideD1J], 5                 // scale stride
_v_add_u32 v131, v131, s56                         // Move coutRowPtr to next row
v_cmp_lt_u32 s[56:57], v128, s[sgprSizeI]          // coord0 < size0
v_cmp_lt_u32 s[60:61], v129, s[sgprSizeJ]          // coord1 < size1
s_and_b64 s[60:61], s[56:57], s[60:61]             // in0 && in1
_v_add_lshl_u32 v159, v131, v128, 0x3              // scaleToBpe: accumulate d0 lower and *= bpe into Cin addr
v_cndmask_b32 v159, -1, v159, s[60:61]             // LDD clip if OOB. offset
/* (d1,vc1,d0,vc0)=(6,0,0,1) */
_v_add_co_u32 v132, vcc, v128, 1                   // coord0.1: coord0 += d0*sg0*VW + vc0
v_cmp_lt_u32 s[56:57], v132, s[sgprSizeI]          // coord0 < size0
v_cmp_lt_u32 s[60:61], v129, s[sgprSizeJ]          // coord1 < size1
s_and_b64 s[60:61], s[56:57], s[60:61]             // in0 && in1
_v_add_lshl_u32 v164, v131, v132, 0x3              // scaleToBpe: accumulate d0 lower and *= bpe into Cin addr
v_cndmask_b32 v164, -1, v164, s[60:61]             // LDD clip if OOB. offset
/* (d1,vc1,d0,vc0)=(6,1,0,0) */
_v_add_co_u32 v129, vcc, v129, 1                   // coord1.1: coord1Vgpr += d1*sg1*VW + vc1

/* Fix for UseInitialStridesCD, emitAddressSetupCode */
_v_add_u32 v130, v130, s[sgprStrideC1J]            // ROWINC- Move cinRowPtr to next row
_v_add_u32 v131, v131, s[sgprStrideD1J]            // Move coutRowPtr to next row
v_cmp_lt_u32 s[56:57], v128, s[sgprSizeI]          // coord0 < size0
v_cmp_lt_u32 s[60:61], v129, s[sgprSizeJ]          // coord1 < size1
s_and_b64 s[60:61], s[56:57], s[60:61]             // in0 && in1
_v_add_lshl_u32 v165, v131, v128, 0x3              // scaleToBpe: accumulate d0 lower and *= bpe into Cin addr
v_cndmask_b32 v165, -1, v165, s[60:61]             // LDD clip if OOB. offset
/* (d1,vc1,d0,vc0)=(6,1,0,1) */
_v_add_co_u32 v132, vcc, v128, 1                   // coord0.1: coord0 += d0*sg0*VW + vc0
v_cmp_lt_u32 s[56:57], v132, s[sgprSizeI]          // coord0 < size0
v_cmp_lt_u32 s[60:61], v129, s[sgprSizeJ]          // coord1 < size1
s_and_b64 s[60:61], s[56:57], s[60:61]             // in0 && in1
_v_add_lshl_u32 v170, v131, v132, 0x3              // scaleToBpe: accumulate d0 lower and *= bpe into Cin addr
v_cndmask_b32 v170, -1, v170, s[60:61]             // LDD clip if OOB. offset
/* (d1,vc1,d0,vc0)=(6,2,0,0) */
_v_add_co_u32 v129, vcc, v129, 1                   // coord1.1: coord1Vgpr += d1*sg1*VW + vc1

/* Fix for UseInitialStridesCD, emitAddressSetupCode */
_v_add_u32 v130, v130, s[sgprStrideC1J]            // ROWINC- Move cinRowPtr to next row
_v_add_u32 v131, v131, s[sgprStrideD1J]            // Move coutRowPtr to next row
	;; [unrolled: 18-line block ×3, first 2 shown]
v_cmp_lt_u32 s[56:57], v128, s[sgprSizeI]          // coord0 < size0
v_cmp_lt_u32 s[60:61], v129, s[sgprSizeJ]          // coord1 < size1
s_and_b64 s[60:61], s[56:57], s[60:61]             // in0 && in1
_v_add_lshl_u32 v177, v131, v128, 0x3              // scaleToBpe: accumulate d0 lower and *= bpe into Cin addr
v_cndmask_b32 v177, -1, v177, s[60:61]             // LDD clip if OOB. offset
/* (d1,vc1,d0,vc0)=(6,3,0,1) */
_v_add_co_u32 v132, vcc, v128, 1                   // coord0.1: coord0 += d0*sg0*VW + vc0
v_cmp_lt_u32 s[56:57], v132, s[sgprSizeI]          // coord0 < size0
v_cmp_lt_u32 s[60:61], v129, s[sgprSizeJ]          // coord1 < size1
s_and_b64 s[60:61], s[56:57], s[60:61]             // in0 && in1
_v_add_lshl_u32 v182, v131, v132, 0x3              // scaleToBpe: accumulate d0 lower and *= bpe into Cin addr
v_cndmask_b32 v182, -1, v182, s[60:61]             // LDD clip if OOB. offset
/* (d1,vc1,d0,vc0)=(7,0,0,0) */
_v_add_co_u32 v129, vcc, v129, 5                   // coord1.1: coord1Vgpr += d1*sg1*VW + vc1

/* Fix for UseInitialStridesCD, emitAddressSetupCode */
s_mul_i32 s56, s[sgprStrideC1J], 5                 // scale stride
_v_add_u32 v130, v130, s56                         // ROWINC- Move cinRowPtr to next row
s_mul_i32 s56, s[sgprStrideD1J], 5                 // scale stride
_v_add_u32 v131, v131, s56                         // Move coutRowPtr to next row
v_cmp_lt_u32 s[56:57], v128, s[sgprSizeI]          // coord0 < size0
v_cmp_lt_u32 s[60:61], v129, s[sgprSizeJ]          // coord1 < size1
s_and_b64 s[60:61], s[56:57], s[60:61]             // in0 && in1
_v_add_lshl_u32 v183, v131, v128, 0x3              // scaleToBpe: accumulate d0 lower and *= bpe into Cin addr
v_cndmask_b32 v183, -1, v183, s[60:61]             // LDD clip if OOB. offset
/* (d1,vc1,d0,vc0)=(7,0,0,1) */
_v_add_co_u32 v132, vcc, v128, 1                   // coord0.1: coord0 += d0*sg0*VW + vc0
v_cmp_lt_u32 s[56:57], v132, s[sgprSizeI]          // coord0 < size0
v_cmp_lt_u32 s[60:61], v129, s[sgprSizeJ]          // coord1 < size1
s_and_b64 s[60:61], s[56:57], s[60:61]             // in0 && in1
_v_add_lshl_u32 v190, v131, v132, 0x3              // scaleToBpe: accumulate d0 lower and *= bpe into Cin addr
v_cndmask_b32 v190, -1, v190, s[60:61]             // LDD clip if OOB. offset
/* (d1,vc1,d0,vc0)=(7,1,0,0) */
_v_add_co_u32 v129, vcc, v129, 1                   // coord1.1: coord1Vgpr += d1*sg1*VW + vc1

/* Fix for UseInitialStridesCD, emitAddressSetupCode */
_v_add_u32 v130, v130, s[sgprStrideC1J]            // ROWINC- Move cinRowPtr to next row
_v_add_u32 v131, v131, s[sgprStrideD1J]            // Move coutRowPtr to next row
v_cmp_lt_u32 s[56:57], v128, s[sgprSizeI]          // coord0 < size0
v_cmp_lt_u32 s[60:61], v129, s[sgprSizeJ]          // coord1 < size1
s_and_b64 s[60:61], s[56:57], s[60:61]             // in0 && in1
_v_add_lshl_u32 v191, v131, v128, 0x3              // scaleToBpe: accumulate d0 lower and *= bpe into Cin addr
v_cndmask_b32 v191, -1, v191, s[60:61]             // LDD clip if OOB. offset
/* (d1,vc1,d0,vc0)=(7,1,0,1) */
_v_add_co_u32 v132, vcc, v128, 1                   // coord0.1: coord0 += d0*sg0*VW + vc0
v_cmp_lt_u32 s[56:57], v132, s[sgprSizeI]          // coord0 < size0
v_cmp_lt_u32 s[60:61], v129, s[sgprSizeJ]          // coord1 < size1
s_and_b64 s[60:61], s[56:57], s[60:61]             // in0 && in1
_v_add_lshl_u32 v196, v131, v132, 0x3              // scaleToBpe: accumulate d0 lower and *= bpe into Cin addr
v_cndmask_b32 v196, -1, v196, s[60:61]             // LDD clip if OOB. offset
/* (d1,vc1,d0,vc0)=(7,2,0,0) */
_v_add_co_u32 v129, vcc, v129, 1                   // coord1.1: coord1Vgpr += d1*sg1*VW + vc1

/* Fix for UseInitialStridesCD, emitAddressSetupCode */
_v_add_u32 v130, v130, s[sgprStrideC1J]            // ROWINC- Move cinRowPtr to next row
_v_add_u32 v131, v131, s[sgprStrideD1J]            // Move coutRowPtr to next row
	;; [unrolled: 18-line block ×3, first 2 shown]
v_cmp_lt_u32 s[56:57], v128, s[sgprSizeI]          // coord0 < size0
v_cmp_lt_u32 s[60:61], v129, s[sgprSizeJ]          // coord1 < size1
s_and_b64 s[60:61], s[56:57], s[60:61]             // in0 && in1
_v_add_lshl_u32 v203, v131, v128, 0x3              // scaleToBpe: accumulate d0 lower and *= bpe into Cin addr
v_cndmask_b32 v203, -1, v203, s[60:61]             // LDD clip if OOB. offset
/* (d1,vc1,d0,vc0)=(7,3,0,1) */
_v_add_co_u32 v132, vcc, v128, 1                   // coord0.1: coord0 += d0*sg0*VW + vc0
v_cmp_lt_u32 s[56:57], v132, s[sgprSizeI]          // coord0 < size0
v_cmp_lt_u32 s[60:61], v129, s[sgprSizeJ]          // coord1 < size1
s_and_b64 s[60:61], s[56:57], s[60:61]             // in0 && in1
_v_add_lshl_u32 v208, v131, v132, 0x3              // scaleToBpe: accumulate d0 lower and *= bpe into Cin addr
v_cndmask_b32 v208, -1, v208, s[60:61]             // LDD clip if OOB. offset

/* rC *= alpha batchElements=[(4, 0, 3, 1), (5, 0, 0, 0), (5, 0, 0, 1), (5, 0, 1, 0), (5, 0, 1, 1), (5, 0, 2, 0), (5, 0, 2, 1), (5, 0, 3, 0), (5, 0, 3, 1), (6, 0, 0, 0), (6, 0, 0, 1), (6, 0, 1, 0), (6, 0, 1, 1), (6, 0, 2, 0), (6, 0, 2, 1), (6, 0, 3, 0), (6, 0, 3, 1), (7, 0, 0, 0), (7, 0, 0, 1), (7, 0, 1, 0), (7, 0, 1, 1), (7, 0, 2, 0), (7, 0, 2, 1), (7, 0, 3, 0), (7, 0, 3, 1)] */
v_mul_f32 v132, s[sgprAlpha+0], v[vgprValuC+51] // 
v_mul_f32 v133, s[sgprAlpha+1], v[vgprValuC+51] // 
v_fma_f32 v[vgprValuC+136], s[sgprAlpha+1], -v[vgprValuC+115], v132
v_fma_f32 v[vgprValuC+136 +1], s[sgprAlpha+0], v[vgprValuC+115], v133
v_mul_f32 v132, s[sgprAlpha+0], v[vgprValuC+36] // 
v_mul_f32 v133, s[sgprAlpha+1], v[vgprValuC+36] // 
v_fma_f32 v[vgprValuC+138], s[sgprAlpha+1], -v[vgprValuC+100], v132
v_fma_f32 v[vgprValuC+138 +1], s[sgprAlpha+0], v[vgprValuC+100], v133
	;; [unrolled: 4-line block ×25, first 2 shown]

/* apply mask, calc new C and issue writes */
_buffer_store_b64 v[136:137], v134, s[sgprSrdD:sgprSrdD+3], 0, offen, offset:0,  glc slc // store D
_buffer_store_b64 v[138:139], v135, s[sgprSrdD:sgprSrdD+3], 0, offen, offset:0,  glc slc // store D
	;; [unrolled: 1-line block ×25, first 2 shown]
s_nop 0                                            // 1 wait state required when next inst writes vgprs held by previous dwordx4 store inst
s_branch label_GW_End_106                          // jump to end
GW_Beta_107:
s_and_b32 s56, 255, s[sgprSizeI]                   // s56 = s[sgprSizeI] % 256
s_add_u32 s57, -0x1, s[sgprNumWorkGroups0]         // 
s_cmp_ge_u32 s[sgprWorkGroup0], s57                // wg0 >= nwg0-1 ?
s_cselect_b32 s56, s56, 0                          // set rMT0
s_cmpk_gt_u32 s56, 0x0                             // rMT0 > 0
s_cbranch_scc1 GW_B1_E1_105                        // jump if edges required
s_and_b32 s56, 63, s[sgprSizeJ]                    // s56 = s[sgprSizeJ] % 64
s_add_u32 s57, -0x1, s[sgprNumWorkGroups1]         // 
s_cmp_ge_u32 s[sgprWorkGroup1], s57                // wg1 >= nwg1-1
s_cselect_b32 s56, s56, 0                          // set rMT1
s_cmpk_gt_u32 s56, 0x0                             // rMT1 > 0
s_cbranch_scc1 GW_B1_E1_105                        // jump if edges required
GW_B1_E0_102:

/* edge=0, allocate 2 sgpr. perBatchTmpS=2 perBatchMaskS=0 perElementMaskS=0 elementsPerBatch=14 */
/* optSingleColVgpr=1 optSharedColVgpr=0 optSGPRUsage=BufferLoad_Mask optSrdIncForRow=1 */
s_sleep 3 // optimization: sync and wait
s_barrier

/******************************************/
/* Global Write Alpha Beta Batch #0 (d1,d0,vc1,vc0) = */
/*    (0,0,0,0:vw2); (0,0,1,0:vw2); (0,0,2,0:vw2); (0,0,3,0:vw2); (1,0,0,0:vw2); (1,0,1,0:vw2); (1,0,2,0:vw2); (1,0,3,0:vw2); (2,0,0,0:vw2); (2,0,1,0:vw2); (2,0,2,0:vw2); (2,0,3,0:vw2); (3,0,0,0:vw2); (3,0,1,0:vw2) */
/******************************************/

/* calc coords, apply mask, and issue loads (if necessary) */

/* rC *= alpha batchElements=[(0, 0, 0, 0), (0, 0, 1, 0), (0, 0, 2, 0), (0, 0, 3, 0), (1, 0, 0, 0), (1, 0, 1, 0), (1, 0, 2, 0), (1, 0, 3, 0), (2, 0, 0, 0), (2, 0, 1, 0), (2, 0, 2, 0), (2, 0, 3, 0), (3, 0, 0, 0), (3, 0, 1, 0)] */
v_mul_f32 v132, s[sgprAlpha+0], v[vgprValuC+0] // 
v_mul_f32 v133, s[sgprAlpha+1], v[vgprValuC+0] // 
v_fma_f32 v[vgprValuC+140], s[sgprAlpha+1], -v[vgprValuC+64], v132
v_fma_f32 v[vgprValuC+140 +1], s[sgprAlpha+0], v[vgprValuC+64], v133
v_mul_f32 v132, s[sgprAlpha+0], v[vgprValuC+16] // 
v_mul_f32 v133, s[sgprAlpha+1], v[vgprValuC+16] // 
v_fma_f32 v[vgprValuC+142], s[sgprAlpha+1], -v[vgprValuC+80], v132
v_fma_f32 v[vgprValuC+142 +1], s[sgprAlpha+0], v[vgprValuC+80], v133
	;; [unrolled: 4-line block ×28, first 2 shown]
/* (d1,vc1,d0,vc0)=(0,0,0,0) */
_v_add_lshl_u32 v135, v130, v128, 0x3              // optSingleColVgpr scaleToBpe: sharedAddrVgpr <- cinRowPtr + coord0, scaled by BPE. BSHERE:coord0=128, coord0Vgpr=128
_buffer_load_b128 v[136:139], v135, s[sgprSrdC:sgprSrdC+3], 0, offen offset:0,  glc slc // load C for beta calc
/* (d1,vc1,d0,vc0)=(0,1,0,0) */
s_lshl_b32  s56, s[sgprStrideC1J], 3               // incToNextRow: Scale by BPE
s_add_u32  s[sgprSrdC+0], s[sgprSrdC+0], s56       // incToNextRow: gra SRD += inc(lower)
s_addc_u32  s[sgprSrdC+1], s[sgprSrdC+1], 0        // incToNextRow: gra SRD += inc(upper)
_buffer_load_b128 v[144:147], v135, s[sgprSrdC:sgprSrdC+3], 0, offen offset:0,  glc slc // load C for beta calc
/* (d1,vc1,d0,vc0)=(0,2,0,0) */
s_lshl_b32  s56, s[sgprStrideC1J], 3               // incToNextRow: Scale by BPE
s_add_u32  s[sgprSrdC+0], s[sgprSrdC+0], s56       // incToNextRow: gra SRD += inc(lower)
s_addc_u32  s[sgprSrdC+1], s[sgprSrdC+1], 0        // incToNextRow: gra SRD += inc(upper)
_buffer_load_b128 v[152:155], v135, s[sgprSrdC:sgprSrdC+3], 0, offen offset:0,  glc slc // load C for beta calc
/* (d1,vc1,d0,vc0)=(0,3,0,0) */
s_lshl_b32  s56, s[sgprStrideC1J], 3               // incToNextRow: Scale by BPE
s_add_u32  s[sgprSrdC+0], s[sgprSrdC+0], s56       // incToNextRow: gra SRD += inc(lower)
s_addc_u32  s[sgprSrdC+1], s[sgprSrdC+1], 0        // incToNextRow: gra SRD += inc(upper)
_buffer_load_b128 v[160:163], v135, s[sgprSrdC:sgprSrdC+3], 0, offen offset:0,  glc slc // load C for beta calc
/* (d1,vc1,d0,vc0)=(1,0,0,0) */
s_mul_i32 s56, s[sgprStrideC1J], 40                // scale StrideC *= numRows(5) * bpe
s_add_u32  s[sgprSrdC+0], s[sgprSrdC+0], s56       // incToNextRow: gra SRD += inc(lower)
s_addc_u32  s[sgprSrdC+1], s[sgprSrdC+1], 0        // incToNextRow: gra SRD += inc(upper)
_buffer_load_b128 v[168:171], v135, s[sgprSrdC:sgprSrdC+3], 0, offen offset:0,  glc slc // load C for beta calc
/* (d1,vc1,d0,vc0)=(1,1,0,0) */
s_lshl_b32  s56, s[sgprStrideC1J], 3               // incToNextRow: Scale by BPE
s_add_u32  s[sgprSrdC+0], s[sgprSrdC+0], s56       // incToNextRow: gra SRD += inc(lower)
s_addc_u32  s[sgprSrdC+1], s[sgprSrdC+1], 0        // incToNextRow: gra SRD += inc(upper)
_buffer_load_b128 v[176:179], v135, s[sgprSrdC:sgprSrdC+3], 0, offen offset:0,  glc slc // load C for beta calc
/* (d1,vc1,d0,vc0)=(1,2,0,0) */
s_lshl_b32  s56, s[sgprStrideC1J], 3               // incToNextRow: Scale by BPE
s_add_u32  s[sgprSrdC+0], s[sgprSrdC+0], s56       // incToNextRow: gra SRD += inc(lower)
s_addc_u32  s[sgprSrdC+1], s[sgprSrdC+1], 0        // incToNextRow: gra SRD += inc(upper)
_buffer_load_b128 v[188:191], v135, s[sgprSrdC:sgprSrdC+3], 0, offen offset:0,  glc slc // load C for beta calc
/* (d1,vc1,d0,vc0)=(1,3,0,0) */
s_lshl_b32  s56, s[sgprStrideC1J], 3               // incToNextRow: Scale by BPE
s_add_u32  s[sgprSrdC+0], s[sgprSrdC+0], s56       // incToNextRow: gra SRD += inc(lower)
s_addc_u32  s[sgprSrdC+1], s[sgprSrdC+1], 0        // incToNextRow: gra SRD += inc(upper)
_buffer_load_b128 v[196:199], v135, s[sgprSrdC:sgprSrdC+3], 0, offen offset:0,  glc slc // load C for beta calc
/* (d1,vc1,d0,vc0)=(2,0,0,0) */
s_mul_i32 s56, s[sgprStrideC1J], 40                // scale StrideC *= numRows(5) * bpe
s_add_u32  s[sgprSrdC+0], s[sgprSrdC+0], s56       // incToNextRow: gra SRD += inc(lower)
s_addc_u32  s[sgprSrdC+1], s[sgprSrdC+1], 0        // incToNextRow: gra SRD += inc(upper)
	;; [unrolled: 20-line block ×3, first 2 shown]
_buffer_load_b128 v[236:239], v135, s[sgprSrdC:sgprSrdC+3], 0, offen offset:0,  glc slc // load C for beta calc
/* (d1,vc1,d0,vc0)=(3,1,0,0) */
s_lshl_b32  s56, s[sgprStrideC1J], 3               // incToNextRow: Scale by BPE
s_add_u32  s[sgprSrdC+0], s[sgprSrdC+0], s56       // incToNextRow: gra SRD += inc(lower)
s_addc_u32  s[sgprSrdC+1], s[sgprSrdC+1], 0        // incToNextRow: gra SRD += inc(upper)
_buffer_load_b128 v[244:247], v135, s[sgprSrdC:sgprSrdC+3], 0, offen offset:0,  glc slc // load C for beta calc
_v_add_lshl_u32 v134, v131, v128, 0x3              // optSingleColVgpr scaleToBpe: sharedAddrVgpr <- cinRowPtr + coord0, scaled by BPE. BSHERE:coord0=128, coord0Vgpr=128
s_sleep 3 // optimization: sync and wait
s_barrier

/* apply mask, calc new C and issue writes */

s_waitcnt vmcnt(13)                                // wait C (interleaved) 13 = 14 - 0 + 0 - 1
_v_mac_f32 v[vgprValuC+140], v136, s[sgprBeta]     // finalSum Cr += old Cr * Br
_v_mac_f32 v[vgprValuC+140], v137, -s[sgprBeta+1]  // finalSum Cr += old Ci * -Bi
_v_mac_f32 v[vgprValuC+141], v137, s[sgprBeta]     // finalSum Ci += old Ci * Br
_v_mac_f32 v[vgprValuC+141], v136, s[sgprBeta+1]   // finalSum Ci += old Cr * Bi
_v_mac_f32 v[vgprValuC+142], v138, s[sgprBeta]     // finalSum Cr += old Cr * Br
_v_mac_f32 v[vgprValuC+142], v139, -s[sgprBeta+1]  // finalSum Cr += old Ci * -Bi
_v_mac_f32 v[vgprValuC+143], v139, s[sgprBeta]     // finalSum Ci += old Ci * Br
_v_mac_f32 v[vgprValuC+143], v138, s[sgprBeta+1]   // finalSum Ci += old Cr * Bi
_buffer_store_b128 v[140:143], v134, s[sgprSrdD:sgprSrdD+3], 0, offen, offset:0,  glc slc // store D

s_waitcnt vmcnt(13)                                // wait C (interleaved) 13 = 14 - 1 + 1 - 1
_v_mac_f32 v[vgprValuC+148], v144, s[sgprBeta]     // finalSum Cr += old Cr * Br
_v_mac_f32 v[vgprValuC+148], v145, -s[sgprBeta+1]  // finalSum Cr += old Ci * -Bi
_v_mac_f32 v[vgprValuC+149], v145, s[sgprBeta]     // finalSum Ci += old Ci * Br
_v_mac_f32 v[vgprValuC+149], v144, s[sgprBeta+1]   // finalSum Ci += old Cr * Bi
_v_mac_f32 v[vgprValuC+150], v146, s[sgprBeta]     // finalSum Cr += old Cr * Br
_v_mac_f32 v[vgprValuC+150], v147, -s[sgprBeta+1]  // finalSum Cr += old Ci * -Bi
_v_mac_f32 v[vgprValuC+151], v147, s[sgprBeta]     // finalSum Ci += old Ci * Br
_v_mac_f32 v[vgprValuC+151], v146, s[sgprBeta+1]   // finalSum Ci += old Cr * Bi
s_lshl_b32  s56, s[sgprStrideD1J], 3               // incToNextRow: Scale by BPE
s_add_u32  s[sgprSrdD+0], s[sgprSrdD+0], s56       // incToNextRow: gra SRD += inc(lower)
s_addc_u32  s[sgprSrdD+1], s[sgprSrdD+1], 0        // incToNextRow: gra SRD += inc(upper)
_buffer_store_b128 v[148:151], v134, s[sgprSrdD:sgprSrdD+3], 0, offen, offset:0,  glc slc // store D

s_waitcnt vmcnt(13)                                // wait C (interleaved) 13 = 14 - 2 + 2 - 1
_v_mac_f32 v[vgprValuC+156], v152, s[sgprBeta]     // finalSum Cr += old Cr * Br
_v_mac_f32 v[vgprValuC+156], v153, -s[sgprBeta+1]  // finalSum Cr += old Ci * -Bi
_v_mac_f32 v[vgprValuC+157], v153, s[sgprBeta]     // finalSum Ci += old Ci * Br
_v_mac_f32 v[vgprValuC+157], v152, s[sgprBeta+1]   // finalSum Ci += old Cr * Bi
_v_mac_f32 v[vgprValuC+158], v154, s[sgprBeta]     // finalSum Cr += old Cr * Br
_v_mac_f32 v[vgprValuC+158], v155, -s[sgprBeta+1]  // finalSum Cr += old Ci * -Bi
_v_mac_f32 v[vgprValuC+159], v155, s[sgprBeta]     // finalSum Ci += old Ci * Br
_v_mac_f32 v[vgprValuC+159], v154, s[sgprBeta+1]   // finalSum Ci += old Cr * Bi
s_lshl_b32  s56, s[sgprStrideD1J], 3               // incToNextRow: Scale by BPE
s_add_u32  s[sgprSrdD+0], s[sgprSrdD+0], s56       // incToNextRow: gra SRD += inc(lower)
s_addc_u32  s[sgprSrdD+1], s[sgprSrdD+1], 0        // incToNextRow: gra SRD += inc(upper)
_buffer_store_b128 v[156:159], v134, s[sgprSrdD:sgprSrdD+3], 0, offen, offset:0,  glc slc // store D

s_waitcnt vmcnt(13)                                // wait C (interleaved) 13 = 14 - 3 + 3 - 1
_v_mac_f32 v[vgprValuC+164], v160, s[sgprBeta]     // finalSum Cr += old Cr * Br
_v_mac_f32 v[vgprValuC+164], v161, -s[sgprBeta+1]  // finalSum Cr += old Ci * -Bi
_v_mac_f32 v[vgprValuC+165], v161, s[sgprBeta]     // finalSum Ci += old Ci * Br
_v_mac_f32 v[vgprValuC+165], v160, s[sgprBeta+1]   // finalSum Ci += old Cr * Bi
_v_mac_f32 v[vgprValuC+166], v162, s[sgprBeta]     // finalSum Cr += old Cr * Br
_v_mac_f32 v[vgprValuC+166], v163, -s[sgprBeta+1]  // finalSum Cr += old Ci * -Bi
_v_mac_f32 v[vgprValuC+167], v163, s[sgprBeta]     // finalSum Ci += old Ci * Br
_v_mac_f32 v[vgprValuC+167], v162, s[sgprBeta+1]   // finalSum Ci += old Cr * Bi
s_lshl_b32  s56, s[sgprStrideD1J], 3               // incToNextRow: Scale by BPE
s_add_u32  s[sgprSrdD+0], s[sgprSrdD+0], s56       // incToNextRow: gra SRD += inc(lower)
s_addc_u32  s[sgprSrdD+1], s[sgprSrdD+1], 0        // incToNextRow: gra SRD += inc(upper)
_buffer_store_b128 v[164:167], v134, s[sgprSrdD:sgprSrdD+3], 0, offen, offset:0,  glc slc // store D

s_waitcnt vmcnt(13)                                // wait C (interleaved) 13 = 14 - 4 + 4 - 1
_v_mac_f32 v[vgprValuC+172], v168, s[sgprBeta]     // finalSum Cr += old Cr * Br
_v_mac_f32 v[vgprValuC+172], v169, -s[sgprBeta+1]  // finalSum Cr += old Ci * -Bi
_v_mac_f32 v[vgprValuC+173], v169, s[sgprBeta]     // finalSum Ci += old Ci * Br
_v_mac_f32 v[vgprValuC+173], v168, s[sgprBeta+1]   // finalSum Ci += old Cr * Bi
_v_mac_f32 v[vgprValuC+174], v170, s[sgprBeta]     // finalSum Cr += old Cr * Br
_v_mac_f32 v[vgprValuC+174], v171, -s[sgprBeta+1]  // finalSum Cr += old Ci * -Bi
_v_mac_f32 v[vgprValuC+175], v171, s[sgprBeta]     // finalSum Ci += old Ci * Br
_v_mac_f32 v[vgprValuC+175], v170, s[sgprBeta+1]   // finalSum Ci += old Cr * Bi
s_mul_i32 s56, s[sgprStrideD1J], 40                // scale StrideD *= numRows(5) * bpe
s_add_u32  s[sgprSrdD+0], s[sgprSrdD+0], s56       // incToNextRow: gra SRD += inc(lower)
s_addc_u32  s[sgprSrdD+1], s[sgprSrdD+1], 0        // incToNextRow: gra SRD += inc(upper)
_buffer_store_b128 v[172:175], v134, s[sgprSrdD:sgprSrdD+3], 0, offen, offset:0,  glc slc // store D

s_waitcnt vmcnt(13)                                // wait C (interleaved) 13 = 14 - 5 + 5 - 1
_v_mac_f32 v[vgprValuC+180], v176, s[sgprBeta]     // finalSum Cr += old Cr * Br
_v_mac_f32 v[vgprValuC+180], v177, -s[sgprBeta+1]  // finalSum Cr += old Ci * -Bi
_v_mac_f32 v[vgprValuC+181], v177, s[sgprBeta]     // finalSum Ci += old Ci * Br
_v_mac_f32 v[vgprValuC+181], v176, s[sgprBeta+1]   // finalSum Ci += old Cr * Bi
_v_mac_f32 v[vgprValuC+182], v178, s[sgprBeta]     // finalSum Cr += old Cr * Br
_v_mac_f32 v[vgprValuC+182], v179, -s[sgprBeta+1]  // finalSum Cr += old Ci * -Bi
_v_mac_f32 v[vgprValuC+183], v179, s[sgprBeta]     // finalSum Ci += old Ci * Br
_v_mac_f32 v[vgprValuC+183], v178, s[sgprBeta+1]   // finalSum Ci += old Cr * Bi
s_lshl_b32  s56, s[sgprStrideD1J], 3               // incToNextRow: Scale by BPE
s_add_u32  s[sgprSrdD+0], s[sgprSrdD+0], s56       // incToNextRow: gra SRD += inc(lower)
s_addc_u32  s[sgprSrdD+1], s[sgprSrdD+1], 0        // incToNextRow: gra SRD += inc(upper)
_buffer_store_b128 v[180:183], v134, s[sgprSrdD:sgprSrdD+3], 0, offen, offset:0,  glc slc // store D

s_waitcnt vmcnt(13)                                // wait C (interleaved) 13 = 14 - 6 + 6 - 1
_v_mac_f32 v[vgprValuC+192], v188, s[sgprBeta]     // finalSum Cr += old Cr * Br
_v_mac_f32 v[vgprValuC+192], v189, -s[sgprBeta+1]  // finalSum Cr += old Ci * -Bi
_v_mac_f32 v[vgprValuC+193], v189, s[sgprBeta]     // finalSum Ci += old Ci * Br
_v_mac_f32 v[vgprValuC+193], v188, s[sgprBeta+1]   // finalSum Ci += old Cr * Bi
_v_mac_f32 v[vgprValuC+194], v190, s[sgprBeta]     // finalSum Cr += old Cr * Br
_v_mac_f32 v[vgprValuC+194], v191, -s[sgprBeta+1]  // finalSum Cr += old Ci * -Bi
_v_mac_f32 v[vgprValuC+195], v191, s[sgprBeta]     // finalSum Ci += old Ci * Br
_v_mac_f32 v[vgprValuC+195], v190, s[sgprBeta+1]   // finalSum Ci += old Cr * Bi
s_lshl_b32  s56, s[sgprStrideD1J], 3               // incToNextRow: Scale by BPE
s_add_u32  s[sgprSrdD+0], s[sgprSrdD+0], s56       // incToNextRow: gra SRD += inc(lower)
s_addc_u32  s[sgprSrdD+1], s[sgprSrdD+1], 0        // incToNextRow: gra SRD += inc(upper)
_buffer_store_b128 v[192:195], v134, s[sgprSrdD:sgprSrdD+3], 0, offen, offset:0,  glc slc // store D

s_waitcnt vmcnt(13)                                // wait C (interleaved) 13 = 14 - 7 + 7 - 1
_v_mac_f32 v[vgprValuC+200], v196, s[sgprBeta]     // finalSum Cr += old Cr * Br
_v_mac_f32 v[vgprValuC+200], v197, -s[sgprBeta+1]  // finalSum Cr += old Ci * -Bi
_v_mac_f32 v[vgprValuC+201], v197, s[sgprBeta]     // finalSum Ci += old Ci * Br
_v_mac_f32 v[vgprValuC+201], v196, s[sgprBeta+1]   // finalSum Ci += old Cr * Bi
_v_mac_f32 v[vgprValuC+202], v198, s[sgprBeta]     // finalSum Cr += old Cr * Br
_v_mac_f32 v[vgprValuC+202], v199, -s[sgprBeta+1]  // finalSum Cr += old Ci * -Bi
_v_mac_f32 v[vgprValuC+203], v199, s[sgprBeta]     // finalSum Ci += old Ci * Br
_v_mac_f32 v[vgprValuC+203], v198, s[sgprBeta+1]   // finalSum Ci += old Cr * Bi
s_lshl_b32  s56, s[sgprStrideD1J], 3               // incToNextRow: Scale by BPE
s_add_u32  s[sgprSrdD+0], s[sgprSrdD+0], s56       // incToNextRow: gra SRD += inc(lower)
s_addc_u32  s[sgprSrdD+1], s[sgprSrdD+1], 0        // incToNextRow: gra SRD += inc(upper)
_buffer_store_b128 v[200:203], v134, s[sgprSrdD:sgprSrdD+3], 0, offen, offset:0,  glc slc // store D

s_waitcnt vmcnt(13)                                // wait C (interleaved) 13 = 14 - 8 + 8 - 1
_v_mac_f32 v[vgprValuC+208], v204, s[sgprBeta]     // finalSum Cr += old Cr * Br
_v_mac_f32 v[vgprValuC+208], v205, -s[sgprBeta+1]  // finalSum Cr += old Ci * -Bi
_v_mac_f32 v[vgprValuC+209], v205, s[sgprBeta]     // finalSum Ci += old Ci * Br
_v_mac_f32 v[vgprValuC+209], v204, s[sgprBeta+1]   // finalSum Ci += old Cr * Bi
_v_mac_f32 v[vgprValuC+210], v206, s[sgprBeta]     // finalSum Cr += old Cr * Br
_v_mac_f32 v[vgprValuC+210], v207, -s[sgprBeta+1]  // finalSum Cr += old Ci * -Bi
_v_mac_f32 v[vgprValuC+211], v207, s[sgprBeta]     // finalSum Ci += old Ci * Br
_v_mac_f32 v[vgprValuC+211], v206, s[sgprBeta+1]   // finalSum Ci += old Cr * Bi
s_mul_i32 s56, s[sgprStrideD1J], 40                // scale StrideD *= numRows(5) * bpe
s_add_u32  s[sgprSrdD+0], s[sgprSrdD+0], s56       // incToNextRow: gra SRD += inc(lower)
s_addc_u32  s[sgprSrdD+1], s[sgprSrdD+1], 0        // incToNextRow: gra SRD += inc(upper)
	;; [unrolled: 56-line block ×3, first 2 shown]
_buffer_store_b128 v[240:243], v134, s[sgprSrdD:sgprSrdD+3], 0, offen, offset:0,  glc slc // store D

s_waitcnt vmcnt(13)                                // wait C (interleaved) 13 = 14 - 13 + 13 - 1
_v_mac_f32 v[vgprValuC+248], v244, s[sgprBeta]     // finalSum Cr += old Cr * Br
_v_mac_f32 v[vgprValuC+248], v245, -s[sgprBeta+1]  // finalSum Cr += old Ci * -Bi
_v_mac_f32 v[vgprValuC+249], v245, s[sgprBeta]     // finalSum Ci += old Ci * Br
_v_mac_f32 v[vgprValuC+249], v244, s[sgprBeta+1]   // finalSum Ci += old Cr * Bi
_v_mac_f32 v[vgprValuC+250], v246, s[sgprBeta]     // finalSum Cr += old Cr * Br
_v_mac_f32 v[vgprValuC+250], v247, -s[sgprBeta+1]  // finalSum Cr += old Ci * -Bi
_v_mac_f32 v[vgprValuC+251], v247, s[sgprBeta]     // finalSum Ci += old Ci * Br
_v_mac_f32 v[vgprValuC+251], v246, s[sgprBeta+1]   // finalSum Ci += old Cr * Bi
s_lshl_b32  s56, s[sgprStrideD1J], 3               // incToNextRow: Scale by BPE
s_add_u32  s[sgprSrdD+0], s[sgprSrdD+0], s56       // incToNextRow: gra SRD += inc(lower)
s_addc_u32  s[sgprSrdD+1], s[sgprSrdD+1], 0        // incToNextRow: gra SRD += inc(upper)
_buffer_store_b128 v[248:251], v134, s[sgprSrdD:sgprSrdD+3], 0, offen, offset:0,  glc slc // store D
s_nop 0                                            // 1 wait state required when next inst writes vgprs held by previous dwordx4 store inst
/* optSingleColVgpr=1 optSharedColVgpr=0 optSGPRUsage=BufferLoad_Mask optSrdIncForRow=1 */
s_sleep 3 // optimization: sync and wait
s_barrier

/******************************************/
/* Global Write Alpha Beta Batch #1 (d1,d0,vc1,vc0) = */
/*    (3,0,2,0:vw2); (3,0,3,0:vw2); (4,0,0,0:vw2); (4,0,1,0:vw2); (4,0,2,0:vw2); (4,0,3,0:vw2); (5,0,0,0:vw2); (5,0,1,0:vw2); (5,0,2,0:vw2); (5,0,3,0:vw2); (6,0,0,0:vw2); (6,0,1,0:vw2); (6,0,2,0:vw2); (6,0,3,0:vw2) */
/******************************************/

/* calc coords, apply mask, and issue loads (if necessary) */

/* rC *= alpha batchElements=[(3, 0, 2, 0), (3, 0, 3, 0), (4, 0, 0, 0), (4, 0, 1, 0), (4, 0, 2, 0), (4, 0, 3, 0), (5, 0, 0, 0), (5, 0, 1, 0), (5, 0, 2, 0), (5, 0, 3, 0), (6, 0, 0, 0), (6, 0, 1, 0), (6, 0, 2, 0), (6, 0, 3, 0)] */
v_mul_f32 v132, s[sgprAlpha+0], v[vgprValuC+14] // 
v_mul_f32 v133, s[sgprAlpha+1], v[vgprValuC+14] // 
v_fma_f32 v[vgprValuC+140], s[sgprAlpha+1], -v[vgprValuC+78], v132
v_fma_f32 v[vgprValuC+140 +1], s[sgprAlpha+0], v[vgprValuC+78], v133
v_mul_f32 v132, s[sgprAlpha+0], v[vgprValuC+30] // 
v_mul_f32 v133, s[sgprAlpha+1], v[vgprValuC+30] // 
v_fma_f32 v[vgprValuC+142], s[sgprAlpha+1], -v[vgprValuC+94], v132
v_fma_f32 v[vgprValuC+142 +1], s[sgprAlpha+0], v[vgprValuC+94], v133
	;; [unrolled: 4-line block ×28, first 2 shown]
/* (d1,vc1,d0,vc0)=(3,2,0,0) */
s_lshl_b32  s56, s[sgprStrideC1J], 3               // incToNextRow: Scale by BPE
s_add_u32  s[sgprSrdC+0], s[sgprSrdC+0], s56       // incToNextRow: gra SRD += inc(lower)
s_addc_u32  s[sgprSrdC+1], s[sgprSrdC+1], 0        // incToNextRow: gra SRD += inc(upper)
_buffer_load_b128 v[136:139], v135, s[sgprSrdC:sgprSrdC+3], 0, offen offset:0,  glc slc // load C for beta calc
/* (d1,vc1,d0,vc0)=(3,3,0,0) */
s_lshl_b32  s56, s[sgprStrideC1J], 3               // incToNextRow: Scale by BPE
s_add_u32  s[sgprSrdC+0], s[sgprSrdC+0], s56       // incToNextRow: gra SRD += inc(lower)
s_addc_u32  s[sgprSrdC+1], s[sgprSrdC+1], 0        // incToNextRow: gra SRD += inc(upper)
_buffer_load_b128 v[144:147], v135, s[sgprSrdC:sgprSrdC+3], 0, offen offset:0,  glc slc // load C for beta calc
/* (d1,vc1,d0,vc0)=(4,0,0,0) */
s_mul_i32 s56, s[sgprStrideC1J], 40                // scale StrideC *= numRows(5) * bpe
s_add_u32  s[sgprSrdC+0], s[sgprSrdC+0], s56       // incToNextRow: gra SRD += inc(lower)
s_addc_u32  s[sgprSrdC+1], s[sgprSrdC+1], 0        // incToNextRow: gra SRD += inc(upper)
_buffer_load_b128 v[152:155], v135, s[sgprSrdC:sgprSrdC+3], 0, offen offset:0,  glc slc // load C for beta calc
/* (d1,vc1,d0,vc0)=(4,1,0,0) */
s_lshl_b32  s56, s[sgprStrideC1J], 3               // incToNextRow: Scale by BPE
s_add_u32  s[sgprSrdC+0], s[sgprSrdC+0], s56       // incToNextRow: gra SRD += inc(lower)
s_addc_u32  s[sgprSrdC+1], s[sgprSrdC+1], 0        // incToNextRow: gra SRD += inc(upper)
_buffer_load_b128 v[160:163], v135, s[sgprSrdC:sgprSrdC+3], 0, offen offset:0,  glc slc // load C for beta calc
/* (d1,vc1,d0,vc0)=(4,2,0,0) */
s_lshl_b32  s56, s[sgprStrideC1J], 3               // incToNextRow: Scale by BPE
s_add_u32  s[sgprSrdC+0], s[sgprSrdC+0], s56       // incToNextRow: gra SRD += inc(lower)
s_addc_u32  s[sgprSrdC+1], s[sgprSrdC+1], 0        // incToNextRow: gra SRD += inc(upper)
_buffer_load_b128 v[168:171], v135, s[sgprSrdC:sgprSrdC+3], 0, offen offset:0,  glc slc // load C for beta calc
/* (d1,vc1,d0,vc0)=(4,3,0,0) */
s_lshl_b32  s56, s[sgprStrideC1J], 3               // incToNextRow: Scale by BPE
s_add_u32  s[sgprSrdC+0], s[sgprSrdC+0], s56       // incToNextRow: gra SRD += inc(lower)
s_addc_u32  s[sgprSrdC+1], s[sgprSrdC+1], 0        // incToNextRow: gra SRD += inc(upper)
_buffer_load_b128 v[176:179], v135, s[sgprSrdC:sgprSrdC+3], 0, offen offset:0,  glc slc // load C for beta calc
/* (d1,vc1,d0,vc0)=(5,0,0,0) */
s_mul_i32 s56, s[sgprStrideC1J], 40                // scale StrideC *= numRows(5) * bpe
s_add_u32  s[sgprSrdC+0], s[sgprSrdC+0], s56       // incToNextRow: gra SRD += inc(lower)
s_addc_u32  s[sgprSrdC+1], s[sgprSrdC+1], 0        // incToNextRow: gra SRD += inc(upper)
_buffer_load_b128 v[188:191], v135, s[sgprSrdC:sgprSrdC+3], 0, offen offset:0,  glc slc // load C for beta calc
/* (d1,vc1,d0,vc0)=(5,1,0,0) */
s_lshl_b32  s56, s[sgprStrideC1J], 3               // incToNextRow: Scale by BPE
s_add_u32  s[sgprSrdC+0], s[sgprSrdC+0], s56       // incToNextRow: gra SRD += inc(lower)
s_addc_u32  s[sgprSrdC+1], s[sgprSrdC+1], 0        // incToNextRow: gra SRD += inc(upper)
_buffer_load_b128 v[196:199], v135, s[sgprSrdC:sgprSrdC+3], 0, offen offset:0,  glc slc // load C for beta calc
	;; [unrolled: 20-line block ×3, first 2 shown]
/* (d1,vc1,d0,vc0)=(6,2,0,0) */
s_lshl_b32  s56, s[sgprStrideC1J], 3               // incToNextRow: Scale by BPE
s_add_u32  s[sgprSrdC+0], s[sgprSrdC+0], s56       // incToNextRow: gra SRD += inc(lower)
s_addc_u32  s[sgprSrdC+1], s[sgprSrdC+1], 0        // incToNextRow: gra SRD += inc(upper)
_buffer_load_b128 v[236:239], v135, s[sgprSrdC:sgprSrdC+3], 0, offen offset:0,  glc slc // load C for beta calc
/* (d1,vc1,d0,vc0)=(6,3,0,0) */
s_lshl_b32  s56, s[sgprStrideC1J], 3               // incToNextRow: Scale by BPE
s_add_u32  s[sgprSrdC+0], s[sgprSrdC+0], s56       // incToNextRow: gra SRD += inc(lower)
s_addc_u32  s[sgprSrdC+1], s[sgprSrdC+1], 0        // incToNextRow: gra SRD += inc(upper)
_buffer_load_b128 v[244:247], v135, s[sgprSrdC:sgprSrdC+3], 0, offen offset:0,  glc slc // load C for beta calc
s_sleep 3 // optimization: sync and wait
s_barrier

/* apply mask, calc new C and issue writes */

s_waitcnt vmcnt(13)                                // wait C (interleaved) 13 = 14 - 0 + 0 - 1
_v_mac_f32 v[vgprValuC+140], v136, s[sgprBeta]     // finalSum Cr += old Cr * Br
_v_mac_f32 v[vgprValuC+140], v137, -s[sgprBeta+1]  // finalSum Cr += old Ci * -Bi
_v_mac_f32 v[vgprValuC+141], v137, s[sgprBeta]     // finalSum Ci += old Ci * Br
_v_mac_f32 v[vgprValuC+141], v136, s[sgprBeta+1]   // finalSum Ci += old Cr * Bi
_v_mac_f32 v[vgprValuC+142], v138, s[sgprBeta]     // finalSum Cr += old Cr * Br
_v_mac_f32 v[vgprValuC+142], v139, -s[sgprBeta+1]  // finalSum Cr += old Ci * -Bi
_v_mac_f32 v[vgprValuC+143], v139, s[sgprBeta]     // finalSum Ci += old Ci * Br
_v_mac_f32 v[vgprValuC+143], v138, s[sgprBeta+1]   // finalSum Ci += old Cr * Bi
s_lshl_b32  s56, s[sgprStrideD1J], 3               // incToNextRow: Scale by BPE
s_add_u32  s[sgprSrdD+0], s[sgprSrdD+0], s56       // incToNextRow: gra SRD += inc(lower)
s_addc_u32  s[sgprSrdD+1], s[sgprSrdD+1], 0        // incToNextRow: gra SRD += inc(upper)
_buffer_store_b128 v[140:143], v134, s[sgprSrdD:sgprSrdD+3], 0, offen, offset:0,  glc slc // store D

s_waitcnt vmcnt(13)                                // wait C (interleaved) 13 = 14 - 1 + 1 - 1
_v_mac_f32 v[vgprValuC+148], v144, s[sgprBeta]     // finalSum Cr += old Cr * Br
_v_mac_f32 v[vgprValuC+148], v145, -s[sgprBeta+1]  // finalSum Cr += old Ci * -Bi
_v_mac_f32 v[vgprValuC+149], v145, s[sgprBeta]     // finalSum Ci += old Ci * Br
_v_mac_f32 v[vgprValuC+149], v144, s[sgprBeta+1]   // finalSum Ci += old Cr * Bi
_v_mac_f32 v[vgprValuC+150], v146, s[sgprBeta]     // finalSum Cr += old Cr * Br
_v_mac_f32 v[vgprValuC+150], v147, -s[sgprBeta+1]  // finalSum Cr += old Ci * -Bi
_v_mac_f32 v[vgprValuC+151], v147, s[sgprBeta]     // finalSum Ci += old Ci * Br
_v_mac_f32 v[vgprValuC+151], v146, s[sgprBeta+1]   // finalSum Ci += old Cr * Bi
s_lshl_b32  s56, s[sgprStrideD1J], 3               // incToNextRow: Scale by BPE
s_add_u32  s[sgprSrdD+0], s[sgprSrdD+0], s56       // incToNextRow: gra SRD += inc(lower)
s_addc_u32  s[sgprSrdD+1], s[sgprSrdD+1], 0        // incToNextRow: gra SRD += inc(upper)
_buffer_store_b128 v[148:151], v134, s[sgprSrdD:sgprSrdD+3], 0, offen, offset:0,  glc slc // store D

s_waitcnt vmcnt(13)                                // wait C (interleaved) 13 = 14 - 2 + 2 - 1
_v_mac_f32 v[vgprValuC+156], v152, s[sgprBeta]     // finalSum Cr += old Cr * Br
_v_mac_f32 v[vgprValuC+156], v153, -s[sgprBeta+1]  // finalSum Cr += old Ci * -Bi
_v_mac_f32 v[vgprValuC+157], v153, s[sgprBeta]     // finalSum Ci += old Ci * Br
_v_mac_f32 v[vgprValuC+157], v152, s[sgprBeta+1]   // finalSum Ci += old Cr * Bi
_v_mac_f32 v[vgprValuC+158], v154, s[sgprBeta]     // finalSum Cr += old Cr * Br
_v_mac_f32 v[vgprValuC+158], v155, -s[sgprBeta+1]  // finalSum Cr += old Ci * -Bi
_v_mac_f32 v[vgprValuC+159], v155, s[sgprBeta]     // finalSum Ci += old Ci * Br
_v_mac_f32 v[vgprValuC+159], v154, s[sgprBeta+1]   // finalSum Ci += old Cr * Bi
s_mul_i32 s56, s[sgprStrideD1J], 40                // scale StrideD *= numRows(5) * bpe
s_add_u32  s[sgprSrdD+0], s[sgprSrdD+0], s56       // incToNextRow: gra SRD += inc(lower)
s_addc_u32  s[sgprSrdD+1], s[sgprSrdD+1], 0        // incToNextRow: gra SRD += inc(upper)
_buffer_store_b128 v[156:159], v134, s[sgprSrdD:sgprSrdD+3], 0, offen, offset:0,  glc slc // store D

s_waitcnt vmcnt(13)                                // wait C (interleaved) 13 = 14 - 3 + 3 - 1
_v_mac_f32 v[vgprValuC+164], v160, s[sgprBeta]     // finalSum Cr += old Cr * Br
_v_mac_f32 v[vgprValuC+164], v161, -s[sgprBeta+1]  // finalSum Cr += old Ci * -Bi
_v_mac_f32 v[vgprValuC+165], v161, s[sgprBeta]     // finalSum Ci += old Ci * Br
_v_mac_f32 v[vgprValuC+165], v160, s[sgprBeta+1]   // finalSum Ci += old Cr * Bi
_v_mac_f32 v[vgprValuC+166], v162, s[sgprBeta]     // finalSum Cr += old Cr * Br
_v_mac_f32 v[vgprValuC+166], v163, -s[sgprBeta+1]  // finalSum Cr += old Ci * -Bi
_v_mac_f32 v[vgprValuC+167], v163, s[sgprBeta]     // finalSum Ci += old Ci * Br
_v_mac_f32 v[vgprValuC+167], v162, s[sgprBeta+1]   // finalSum Ci += old Cr * Bi
s_lshl_b32  s56, s[sgprStrideD1J], 3               // incToNextRow: Scale by BPE
s_add_u32  s[sgprSrdD+0], s[sgprSrdD+0], s56       // incToNextRow: gra SRD += inc(lower)
s_addc_u32  s[sgprSrdD+1], s[sgprSrdD+1], 0        // incToNextRow: gra SRD += inc(upper)
_buffer_store_b128 v[164:167], v134, s[sgprSrdD:sgprSrdD+3], 0, offen, offset:0,  glc slc // store D

s_waitcnt vmcnt(13)                                // wait C (interleaved) 13 = 14 - 4 + 4 - 1
_v_mac_f32 v[vgprValuC+172], v168, s[sgprBeta]     // finalSum Cr += old Cr * Br
_v_mac_f32 v[vgprValuC+172], v169, -s[sgprBeta+1]  // finalSum Cr += old Ci * -Bi
_v_mac_f32 v[vgprValuC+173], v169, s[sgprBeta]     // finalSum Ci += old Ci * Br
_v_mac_f32 v[vgprValuC+173], v168, s[sgprBeta+1]   // finalSum Ci += old Cr * Bi
_v_mac_f32 v[vgprValuC+174], v170, s[sgprBeta]     // finalSum Cr += old Cr * Br
_v_mac_f32 v[vgprValuC+174], v171, -s[sgprBeta+1]  // finalSum Cr += old Ci * -Bi
_v_mac_f32 v[vgprValuC+175], v171, s[sgprBeta]     // finalSum Ci += old Ci * Br
_v_mac_f32 v[vgprValuC+175], v170, s[sgprBeta+1]   // finalSum Ci += old Cr * Bi
s_lshl_b32  s56, s[sgprStrideD1J], 3               // incToNextRow: Scale by BPE
s_add_u32  s[sgprSrdD+0], s[sgprSrdD+0], s56       // incToNextRow: gra SRD += inc(lower)
s_addc_u32  s[sgprSrdD+1], s[sgprSrdD+1], 0        // incToNextRow: gra SRD += inc(upper)
_buffer_store_b128 v[172:175], v134, s[sgprSrdD:sgprSrdD+3], 0, offen, offset:0,  glc slc // store D

s_waitcnt vmcnt(13)                                // wait C (interleaved) 13 = 14 - 5 + 5 - 1
_v_mac_f32 v[vgprValuC+180], v176, s[sgprBeta]     // finalSum Cr += old Cr * Br
_v_mac_f32 v[vgprValuC+180], v177, -s[sgprBeta+1]  // finalSum Cr += old Ci * -Bi
_v_mac_f32 v[vgprValuC+181], v177, s[sgprBeta]     // finalSum Ci += old Ci * Br
_v_mac_f32 v[vgprValuC+181], v176, s[sgprBeta+1]   // finalSum Ci += old Cr * Bi
_v_mac_f32 v[vgprValuC+182], v178, s[sgprBeta]     // finalSum Cr += old Cr * Br
_v_mac_f32 v[vgprValuC+182], v179, -s[sgprBeta+1]  // finalSum Cr += old Ci * -Bi
_v_mac_f32 v[vgprValuC+183], v179, s[sgprBeta]     // finalSum Ci += old Ci * Br
_v_mac_f32 v[vgprValuC+183], v178, s[sgprBeta+1]   // finalSum Ci += old Cr * Bi
s_lshl_b32  s56, s[sgprStrideD1J], 3               // incToNextRow: Scale by BPE
s_add_u32  s[sgprSrdD+0], s[sgprSrdD+0], s56       // incToNextRow: gra SRD += inc(lower)
s_addc_u32  s[sgprSrdD+1], s[sgprSrdD+1], 0        // incToNextRow: gra SRD += inc(upper)
_buffer_store_b128 v[180:183], v134, s[sgprSrdD:sgprSrdD+3], 0, offen, offset:0,  glc slc // store D

s_waitcnt vmcnt(13)                                // wait C (interleaved) 13 = 14 - 6 + 6 - 1
_v_mac_f32 v[vgprValuC+192], v188, s[sgprBeta]     // finalSum Cr += old Cr * Br
_v_mac_f32 v[vgprValuC+192], v189, -s[sgprBeta+1]  // finalSum Cr += old Ci * -Bi
_v_mac_f32 v[vgprValuC+193], v189, s[sgprBeta]     // finalSum Ci += old Ci * Br
_v_mac_f32 v[vgprValuC+193], v188, s[sgprBeta+1]   // finalSum Ci += old Cr * Bi
_v_mac_f32 v[vgprValuC+194], v190, s[sgprBeta]     // finalSum Cr += old Cr * Br
_v_mac_f32 v[vgprValuC+194], v191, -s[sgprBeta+1]  // finalSum Cr += old Ci * -Bi
_v_mac_f32 v[vgprValuC+195], v191, s[sgprBeta]     // finalSum Ci += old Ci * Br
_v_mac_f32 v[vgprValuC+195], v190, s[sgprBeta+1]   // finalSum Ci += old Cr * Bi
s_mul_i32 s56, s[sgprStrideD1J], 40                // scale StrideD *= numRows(5) * bpe
s_add_u32  s[sgprSrdD+0], s[sgprSrdD+0], s56       // incToNextRow: gra SRD += inc(lower)
s_addc_u32  s[sgprSrdD+1], s[sgprSrdD+1], 0        // incToNextRow: gra SRD += inc(upper)
_buffer_store_b128 v[192:195], v134, s[sgprSrdD:sgprSrdD+3], 0, offen, offset:0,  glc slc // store D

s_waitcnt vmcnt(13)                                // wait C (interleaved) 13 = 14 - 7 + 7 - 1
_v_mac_f32 v[vgprValuC+200], v196, s[sgprBeta]     // finalSum Cr += old Cr * Br
_v_mac_f32 v[vgprValuC+200], v197, -s[sgprBeta+1]  // finalSum Cr += old Ci * -Bi
_v_mac_f32 v[vgprValuC+201], v197, s[sgprBeta]     // finalSum Ci += old Ci * Br
_v_mac_f32 v[vgprValuC+201], v196, s[sgprBeta+1]   // finalSum Ci += old Cr * Bi
_v_mac_f32 v[vgprValuC+202], v198, s[sgprBeta]     // finalSum Cr += old Cr * Br
_v_mac_f32 v[vgprValuC+202], v199, -s[sgprBeta+1]  // finalSum Cr += old Ci * -Bi
_v_mac_f32 v[vgprValuC+203], v199, s[sgprBeta]     // finalSum Ci += old Ci * Br
_v_mac_f32 v[vgprValuC+203], v198, s[sgprBeta+1]   // finalSum Ci += old Cr * Bi
s_lshl_b32  s56, s[sgprStrideD1J], 3               // incToNextRow: Scale by BPE
s_add_u32  s[sgprSrdD+0], s[sgprSrdD+0], s56       // incToNextRow: gra SRD += inc(lower)
s_addc_u32  s[sgprSrdD+1], s[sgprSrdD+1], 0        // incToNextRow: gra SRD += inc(upper)
_buffer_store_b128 v[200:203], v134, s[sgprSrdD:sgprSrdD+3], 0, offen, offset:0,  glc slc // store D
	;; [unrolled: 56-line block ×3, first 2 shown]

s_waitcnt vmcnt(13)                                // wait C (interleaved) 13 = 14 - 12 + 12 - 1
_v_mac_f32 v[vgprValuC+240], v236, s[sgprBeta]     // finalSum Cr += old Cr * Br
_v_mac_f32 v[vgprValuC+240], v237, -s[sgprBeta+1]  // finalSum Cr += old Ci * -Bi
_v_mac_f32 v[vgprValuC+241], v237, s[sgprBeta]     // finalSum Ci += old Ci * Br
_v_mac_f32 v[vgprValuC+241], v236, s[sgprBeta+1]   // finalSum Ci += old Cr * Bi
_v_mac_f32 v[vgprValuC+242], v238, s[sgprBeta]     // finalSum Cr += old Cr * Br
_v_mac_f32 v[vgprValuC+242], v239, -s[sgprBeta+1]  // finalSum Cr += old Ci * -Bi
_v_mac_f32 v[vgprValuC+243], v239, s[sgprBeta]     // finalSum Ci += old Ci * Br
_v_mac_f32 v[vgprValuC+243], v238, s[sgprBeta+1]   // finalSum Ci += old Cr * Bi
s_lshl_b32  s56, s[sgprStrideD1J], 3               // incToNextRow: Scale by BPE
s_add_u32  s[sgprSrdD+0], s[sgprSrdD+0], s56       // incToNextRow: gra SRD += inc(lower)
s_addc_u32  s[sgprSrdD+1], s[sgprSrdD+1], 0        // incToNextRow: gra SRD += inc(upper)
_buffer_store_b128 v[240:243], v134, s[sgprSrdD:sgprSrdD+3], 0, offen, offset:0,  glc slc // store D

s_waitcnt vmcnt(13)                                // wait C (interleaved) 13 = 14 - 13 + 13 - 1
_v_mac_f32 v[vgprValuC+248], v244, s[sgprBeta]     // finalSum Cr += old Cr * Br
_v_mac_f32 v[vgprValuC+248], v245, -s[sgprBeta+1]  // finalSum Cr += old Ci * -Bi
_v_mac_f32 v[vgprValuC+249], v245, s[sgprBeta]     // finalSum Ci += old Ci * Br
_v_mac_f32 v[vgprValuC+249], v244, s[sgprBeta+1]   // finalSum Ci += old Cr * Bi
_v_mac_f32 v[vgprValuC+250], v246, s[sgprBeta]     // finalSum Cr += old Cr * Br
_v_mac_f32 v[vgprValuC+250], v247, -s[sgprBeta+1]  // finalSum Cr += old Ci * -Bi
_v_mac_f32 v[vgprValuC+251], v247, s[sgprBeta]     // finalSum Ci += old Ci * Br
_v_mac_f32 v[vgprValuC+251], v246, s[sgprBeta+1]   // finalSum Ci += old Cr * Bi
s_lshl_b32  s56, s[sgprStrideD1J], 3               // incToNextRow: Scale by BPE
s_add_u32  s[sgprSrdD+0], s[sgprSrdD+0], s56       // incToNextRow: gra SRD += inc(lower)
s_addc_u32  s[sgprSrdD+1], s[sgprSrdD+1], 0        // incToNextRow: gra SRD += inc(upper)
_buffer_store_b128 v[248:251], v134, s[sgprSrdD:sgprSrdD+3], 0, offen, offset:0,  glc slc // store D
s_nop 0                                            // 1 wait state required when next inst writes vgprs held by previous dwordx4 store inst
/* optSingleColVgpr=1 optSharedColVgpr=0 optSGPRUsage=BufferLoad_Mask optSrdIncForRow=1 */
s_sleep 3 // optimization: sync and wait
s_barrier

/******************************************/
/* Global Write Alpha Beta Batch #2 (d1,d0,vc1,vc0) = */
/*    (7,0,0,0:vw2); (7,0,1,0:vw2); (7,0,2,0:vw2); (7,0,3,0:vw2) */
/******************************************/

/* calc coords, apply mask, and issue loads (if necessary) */

/* rC *= alpha batchElements=[(7, 0, 0, 0), (7, 0, 1, 0), (7, 0, 2, 0), (7, 0, 3, 0)] */
v_mul_f32 v132, s[sgprAlpha+0], v[vgprValuC+44] // 
v_mul_f32 v133, s[sgprAlpha+1], v[vgprValuC+44] // 
v_fma_f32 v[vgprValuC+140], s[sgprAlpha+1], -v[vgprValuC+108], v132
v_fma_f32 v[vgprValuC+140 +1], s[sgprAlpha+0], v[vgprValuC+108], v133
v_mul_f32 v132, s[sgprAlpha+0], v[vgprValuC+60] // 
v_mul_f32 v133, s[sgprAlpha+1], v[vgprValuC+60] // 
v_fma_f32 v[vgprValuC+142], s[sgprAlpha+1], -v[vgprValuC+124], v132
v_fma_f32 v[vgprValuC+142 +1], s[sgprAlpha+0], v[vgprValuC+124], v133
	;; [unrolled: 4-line block ×8, first 2 shown]
/* (d1,vc1,d0,vc0)=(7,0,0,0) */
s_mul_i32 s56, s[sgprStrideC1J], 40                // scale StrideC *= numRows(5) * bpe
s_add_u32  s[sgprSrdC+0], s[sgprSrdC+0], s56       // incToNextRow: gra SRD += inc(lower)
s_addc_u32  s[sgprSrdC+1], s[sgprSrdC+1], 0        // incToNextRow: gra SRD += inc(upper)
_buffer_load_b128 v[136:139], v135, s[sgprSrdC:sgprSrdC+3], 0, offen offset:0,  glc slc // load C for beta calc
/* (d1,vc1,d0,vc0)=(7,1,0,0) */
s_lshl_b32  s56, s[sgprStrideC1J], 3               // incToNextRow: Scale by BPE
s_add_u32  s[sgprSrdC+0], s[sgprSrdC+0], s56       // incToNextRow: gra SRD += inc(lower)
s_addc_u32  s[sgprSrdC+1], s[sgprSrdC+1], 0        // incToNextRow: gra SRD += inc(upper)
_buffer_load_b128 v[144:147], v135, s[sgprSrdC:sgprSrdC+3], 0, offen offset:0,  glc slc // load C for beta calc
/* (d1,vc1,d0,vc0)=(7,2,0,0) */
s_lshl_b32  s56, s[sgprStrideC1J], 3               // incToNextRow: Scale by BPE
	;; [unrolled: 5-line block ×3, first 2 shown]
s_add_u32  s[sgprSrdC+0], s[sgprSrdC+0], s56       // incToNextRow: gra SRD += inc(lower)
s_addc_u32  s[sgprSrdC+1], s[sgprSrdC+1], 0        // incToNextRow: gra SRD += inc(upper)
_buffer_load_b128 v[160:163], v135, s[sgprSrdC:sgprSrdC+3], 0, offen offset:0,  glc slc // load C for beta calc
s_sleep 3 // optimization: sync and wait
s_barrier

/* apply mask, calc new C and issue writes */

s_waitcnt vmcnt(3)                                 // wait C (interleaved) 3 = 4 - 0 + 0 - 1
_v_mac_f32 v[vgprValuC+140], v136, s[sgprBeta]     // finalSum Cr += old Cr * Br
_v_mac_f32 v[vgprValuC+140], v137, -s[sgprBeta+1]  // finalSum Cr += old Ci * -Bi
_v_mac_f32 v[vgprValuC+141], v137, s[sgprBeta]     // finalSum Ci += old Ci * Br
_v_mac_f32 v[vgprValuC+141], v136, s[sgprBeta+1]   // finalSum Ci += old Cr * Bi
_v_mac_f32 v[vgprValuC+142], v138, s[sgprBeta]     // finalSum Cr += old Cr * Br
_v_mac_f32 v[vgprValuC+142], v139, -s[sgprBeta+1]  // finalSum Cr += old Ci * -Bi
_v_mac_f32 v[vgprValuC+143], v139, s[sgprBeta]     // finalSum Ci += old Ci * Br
_v_mac_f32 v[vgprValuC+143], v138, s[sgprBeta+1]   // finalSum Ci += old Cr * Bi
s_mul_i32 s56, s[sgprStrideD1J], 40                // scale StrideD *= numRows(5) * bpe
s_add_u32  s[sgprSrdD+0], s[sgprSrdD+0], s56       // incToNextRow: gra SRD += inc(lower)
s_addc_u32  s[sgprSrdD+1], s[sgprSrdD+1], 0        // incToNextRow: gra SRD += inc(upper)
_buffer_store_b128 v[140:143], v134, s[sgprSrdD:sgprSrdD+3], 0, offen, offset:0,  glc slc // store D

s_waitcnt vmcnt(3)                                 // wait C (interleaved) 3 = 4 - 1 + 1 - 1
_v_mac_f32 v[vgprValuC+148], v144, s[sgprBeta]     // finalSum Cr += old Cr * Br
_v_mac_f32 v[vgprValuC+148], v145, -s[sgprBeta+1]  // finalSum Cr += old Ci * -Bi
_v_mac_f32 v[vgprValuC+149], v145, s[sgprBeta]     // finalSum Ci += old Ci * Br
_v_mac_f32 v[vgprValuC+149], v144, s[sgprBeta+1]   // finalSum Ci += old Cr * Bi
_v_mac_f32 v[vgprValuC+150], v146, s[sgprBeta]     // finalSum Cr += old Cr * Br
_v_mac_f32 v[vgprValuC+150], v147, -s[sgprBeta+1]  // finalSum Cr += old Ci * -Bi
_v_mac_f32 v[vgprValuC+151], v147, s[sgprBeta]     // finalSum Ci += old Ci * Br
_v_mac_f32 v[vgprValuC+151], v146, s[sgprBeta+1]   // finalSum Ci += old Cr * Bi
s_lshl_b32  s56, s[sgprStrideD1J], 3               // incToNextRow: Scale by BPE
s_add_u32  s[sgprSrdD+0], s[sgprSrdD+0], s56       // incToNextRow: gra SRD += inc(lower)
s_addc_u32  s[sgprSrdD+1], s[sgprSrdD+1], 0        // incToNextRow: gra SRD += inc(upper)
_buffer_store_b128 v[148:151], v134, s[sgprSrdD:sgprSrdD+3], 0, offen, offset:0,  glc slc // store D

s_waitcnt vmcnt(3)                                 // wait C (interleaved) 3 = 4 - 2 + 2 - 1
_v_mac_f32 v[vgprValuC+156], v152, s[sgprBeta]     // finalSum Cr += old Cr * Br
_v_mac_f32 v[vgprValuC+156], v153, -s[sgprBeta+1]  // finalSum Cr += old Ci * -Bi
_v_mac_f32 v[vgprValuC+157], v153, s[sgprBeta]     // finalSum Ci += old Ci * Br
_v_mac_f32 v[vgprValuC+157], v152, s[sgprBeta+1]   // finalSum Ci += old Cr * Bi
_v_mac_f32 v[vgprValuC+158], v154, s[sgprBeta]     // finalSum Cr += old Cr * Br
_v_mac_f32 v[vgprValuC+158], v155, -s[sgprBeta+1]  // finalSum Cr += old Ci * -Bi
_v_mac_f32 v[vgprValuC+159], v155, s[sgprBeta]     // finalSum Ci += old Ci * Br
_v_mac_f32 v[vgprValuC+159], v154, s[sgprBeta+1]   // finalSum Ci += old Cr * Bi
s_lshl_b32  s56, s[sgprStrideD1J], 3               // incToNextRow: Scale by BPE
	;; [unrolled: 14-line block ×3, first 2 shown]
s_add_u32  s[sgprSrdD+0], s[sgprSrdD+0], s56       // incToNextRow: gra SRD += inc(lower)
s_addc_u32  s[sgprSrdD+1], s[sgprSrdD+1], 0        // incToNextRow: gra SRD += inc(upper)
_buffer_store_b128 v[164:167], v134, s[sgprSrdD:sgprSrdD+3], 0, offen, offset:0,  glc slc // store D
s_nop 0                                            // 1 wait state required when next inst writes vgprs held by previous dwordx4 store inst
s_branch label_GW_End_106                          // jump to end
GW_B1_E1_105:

/* edge=1, allocate 6 sgpr. perBatchTmpS=4 perBatchMaskS=2 perElementMaskS=0 elementsPerBatch=23 */
/* optSingleColVgpr=0 optSharedColVgpr=0 optSGPRUsage=BufferLoad_Edge_Mask optSrdIncForRow=0 */
s_sleep 3 // optimization: sync and wait
s_barrier

/******************************************/
/* Global Write Alpha Beta Edge Batch #0 (d1,d0,vc1,vc0) = */
/*    (0,0,0,0:vw1); (0,0,0,1:vw1); (0,0,1,0:vw1); (0,0,1,1:vw1); (0,0,2,0:vw1); (0,0,2,1:vw1); (0,0,3,0:vw1); (0,0,3,1:vw1); (1,0,0,0:vw1); (1,0,0,1:vw1); (1,0,1,0:vw1); (1,0,1,1:vw1); (1,0,2,0:vw1); (1,0,2,1:vw1); (1,0,3,0:vw1); (1,0,3,1:vw1); (2,0,0,0:vw1); (2,0,0,1:vw1); (2,0,1,0:vw1); (2,0,1,1:vw1); (2,0,2,0:vw1); (2,0,2,1:vw1); (2,0,3,0:vw1) */
/******************************************/

/* calc coords, apply mask, and issue loads (if necessary) */

/* rC *= alpha batchElements=[(0, 0, 0, 0), (0, 0, 0, 1), (0, 0, 1, 0), (0, 0, 1, 1), (0, 0, 2, 0), (0, 0, 2, 1), (0, 0, 3, 0), (0, 0, 3, 1), (1, 0, 0, 0), (1, 0, 0, 1), (1, 0, 1, 0), (1, 0, 1, 1), (1, 0, 2, 0), (1, 0, 2, 1), (1, 0, 3, 0), (1, 0, 3, 1), (2, 0, 0, 0), (2, 0, 0, 1), (2, 0, 1, 0), (2, 0, 1, 1), (2, 0, 2, 0), (2, 0, 2, 1), (2, 0, 3, 0)] */
v_mul_f32 v132, s[sgprAlpha+0], v[vgprValuC+0] // 
v_mul_f32 v133, s[sgprAlpha+1], v[vgprValuC+0] // 
v_fma_f32 v[vgprValuC+138], s[sgprAlpha+1], -v[vgprValuC+64], v132
v_fma_f32 v[vgprValuC+138 +1], s[sgprAlpha+0], v[vgprValuC+64], v133
v_mul_f32 v132, s[sgprAlpha+0], v[vgprValuC+16] // 
v_mul_f32 v133, s[sgprAlpha+1], v[vgprValuC+16] // 
v_fma_f32 v[vgprValuC+142], s[sgprAlpha+1], -v[vgprValuC+80], v132
v_fma_f32 v[vgprValuC+142 +1], s[sgprAlpha+0], v[vgprValuC+80], v133
	;; [unrolled: 4-line block ×23, first 2 shown]
/* (d1,vc1,d0,vc0)=(0,0,0,0) */
v_cmp_lt_u32 s[56:57], v128, s[sgprSizeI]          // coord0 < size0
v_cmp_lt_u32 s[60:61], v129, s[sgprSizeJ]          // coord1 < size1
s_and_b64 s[60:61], s[56:57], s[60:61]             // in0 && in1
_v_add_lshl_u32 v134, v130, v128, 0x3              // scaleToBpe: accumulate d0 lower and *= bpe into Cin addr
v_cndmask_b32 v134, -1, v134, s[60:61]             // LDC clip if OOB. offset
_buffer_load_b64 v[136:137], v134, s[sgprSrdC:sgprSrdC+3], 0, offen offset:0,  glc slc // load C for beta calc
_v_add_lshl_u32 v134, v131, v128, 0x3              // scaleToBpe: accumulate d0 lower and *= bpe into Cin addr
v_cndmask_b32 v134, -1, v134, s[60:61]             // LDD clip if OOB. offset
/* (d1,vc1,d0,vc0)=(0,0,0,1) */
_v_add_co_u32 v132, vcc, v128, 1                   // coord0.1: coord0 += d0*sg0*VW + vc0
v_cmp_lt_u32 s[56:57], v132, s[sgprSizeI]          // coord0 < size0
v_cmp_lt_u32 s[60:61], v129, s[sgprSizeJ]          // coord1 < size1
s_and_b64 s[60:61], s[56:57], s[60:61]             // in0 && in1
_v_add_lshl_u32 v135, v130, v132, 0x3              // scaleToBpe: accumulate d0 lower and *= bpe into Cin addr
v_cndmask_b32 v135, -1, v135, s[60:61]             // LDC clip if OOB. offset
_buffer_load_b64 v[140:141], v135, s[sgprSrdC:sgprSrdC+3], 0, offen offset:0,  glc slc // load C for beta calc
_v_add_lshl_u32 v135, v131, v132, 0x3              // scaleToBpe: accumulate d0 lower and *= bpe into Cin addr
v_cndmask_b32 v135, -1, v135, s[60:61]             // LDD clip if OOB. offset
/* (d1,vc1,d0,vc0)=(0,1,0,0) */
_v_add_co_u32 v129, vcc, v129, 1                   // coord1.1: coord1Vgpr += d1*sg1*VW + vc1

/* Fix for UseInitialStridesCD, emitAddressSetupCode */
_v_add_u32 v130, v130, s[sgprStrideC1J]            // ROWINC- Move cinRowPtr to next row
_v_add_u32 v131, v131, s[sgprStrideD1J]            // Move coutRowPtr to next row
v_cmp_lt_u32 s[56:57], v128, s[sgprSizeI]          // coord0 < size0
v_cmp_lt_u32 s[60:61], v129, s[sgprSizeJ]          // coord1 < size1
s_and_b64 s[60:61], s[56:57], s[60:61]             // in0 && in1
_v_add_lshl_u32 v144, v130, v128, 0x3              // scaleToBpe: accumulate d0 lower and *= bpe into Cin addr
v_cndmask_b32 v144, -1, v144, s[60:61]             // LDC clip if OOB. offset
_buffer_load_b64 v[146:147], v144, s[sgprSrdC:sgprSrdC+3], 0, offen offset:0,  glc slc // load C for beta calc
_v_add_lshl_u32 v144, v131, v128, 0x3              // scaleToBpe: accumulate d0 lower and *= bpe into Cin addr
v_cndmask_b32 v144, -1, v144, s[60:61]             // LDD clip if OOB. offset
/* (d1,vc1,d0,vc0)=(0,1,0,1) */
_v_add_co_u32 v132, vcc, v128, 1                   // coord0.1: coord0 += d0*sg0*VW + vc0
v_cmp_lt_u32 s[56:57], v132, s[sgprSizeI]          // coord0 < size0
v_cmp_lt_u32 s[60:61], v129, s[sgprSizeJ]          // coord1 < size1
s_and_b64 s[60:61], s[56:57], s[60:61]             // in0 && in1
_v_add_lshl_u32 v145, v130, v132, 0x3              // scaleToBpe: accumulate d0 lower and *= bpe into Cin addr
v_cndmask_b32 v145, -1, v145, s[60:61]             // LDC clip if OOB. offset
_buffer_load_b64 v[150:151], v145, s[sgprSrdC:sgprSrdC+3], 0, offen offset:0,  glc slc // load C for beta calc
_v_add_lshl_u32 v145, v131, v132, 0x3              // scaleToBpe: accumulate d0 lower and *= bpe into Cin addr
v_cndmask_b32 v145, -1, v145, s[60:61]             // LDD clip if OOB. offset
/* (d1,vc1,d0,vc0)=(0,2,0,0) */
_v_add_co_u32 v129, vcc, v129, 1                   // coord1.1: coord1Vgpr += d1*sg1*VW + vc1

/* Fix for UseInitialStridesCD, emitAddressSetupCode */
_v_add_u32 v130, v130, s[sgprStrideC1J]            // ROWINC- Move cinRowPtr to next row
_v_add_u32 v131, v131, s[sgprStrideD1J]            // Move coutRowPtr to next row
	;; [unrolled: 24-line block ×3, first 2 shown]
v_cmp_lt_u32 s[56:57], v128, s[sgprSizeI]          // coord0 < size0
v_cmp_lt_u32 s[60:61], v129, s[sgprSizeJ]          // coord1 < size1
s_and_b64 s[60:61], s[56:57], s[60:61]             // in0 && in1
_v_add_lshl_u32 v164, v130, v128, 0x3              // scaleToBpe: accumulate d0 lower and *= bpe into Cin addr
v_cndmask_b32 v164, -1, v164, s[60:61]             // LDC clip if OOB. offset
_buffer_load_b64 v[166:167], v164, s[sgprSrdC:sgprSrdC+3], 0, offen offset:0,  glc slc // load C for beta calc
_v_add_lshl_u32 v164, v131, v128, 0x3              // scaleToBpe: accumulate d0 lower and *= bpe into Cin addr
v_cndmask_b32 v164, -1, v164, s[60:61]             // LDD clip if OOB. offset
/* (d1,vc1,d0,vc0)=(0,3,0,1) */
_v_add_co_u32 v132, vcc, v128, 1                   // coord0.1: coord0 += d0*sg0*VW + vc0
v_cmp_lt_u32 s[56:57], v132, s[sgprSizeI]          // coord0 < size0
v_cmp_lt_u32 s[60:61], v129, s[sgprSizeJ]          // coord1 < size1
s_and_b64 s[60:61], s[56:57], s[60:61]             // in0 && in1
_v_add_lshl_u32 v165, v130, v132, 0x3              // scaleToBpe: accumulate d0 lower and *= bpe into Cin addr
v_cndmask_b32 v165, -1, v165, s[60:61]             // LDC clip if OOB. offset
_buffer_load_b64 v[170:171], v165, s[sgprSrdC:sgprSrdC+3], 0, offen offset:0,  glc slc // load C for beta calc
_v_add_lshl_u32 v165, v131, v132, 0x3              // scaleToBpe: accumulate d0 lower and *= bpe into Cin addr
v_cndmask_b32 v165, -1, v165, s[60:61]             // LDD clip if OOB. offset
/* (d1,vc1,d0,vc0)=(1,0,0,0) */
_v_add_co_u32 v129, vcc, v129, 5                   // coord1.1: coord1Vgpr += d1*sg1*VW + vc1

/* Fix for UseInitialStridesCD, emitAddressSetupCode */
s_mul_i32 s56, s[sgprStrideC1J], 5                 // scale stride
_v_add_u32 v130, v130, s56                         // ROWINC- Move cinRowPtr to next row
s_mul_i32 s56, s[sgprStrideD1J], 5                 // scale stride
_v_add_u32 v131, v131, s56                         // Move coutRowPtr to next row
v_cmp_lt_u32 s[56:57], v128, s[sgprSizeI]          // coord0 < size0
v_cmp_lt_u32 s[60:61], v129, s[sgprSizeJ]          // coord1 < size1
s_and_b64 s[60:61], s[56:57], s[60:61]             // in0 && in1
_v_add_lshl_u32 v174, v130, v128, 0x3              // scaleToBpe: accumulate d0 lower and *= bpe into Cin addr
v_cndmask_b32 v174, -1, v174, s[60:61]             // LDC clip if OOB. offset
_buffer_load_b64 v[176:177], v174, s[sgprSrdC:sgprSrdC+3], 0, offen offset:0,  glc slc // load C for beta calc
_v_add_lshl_u32 v174, v131, v128, 0x3              // scaleToBpe: accumulate d0 lower and *= bpe into Cin addr
v_cndmask_b32 v174, -1, v174, s[60:61]             // LDD clip if OOB. offset
/* (d1,vc1,d0,vc0)=(1,0,0,1) */
_v_add_co_u32 v132, vcc, v128, 1                   // coord0.1: coord0 += d0*sg0*VW + vc0
v_cmp_lt_u32 s[56:57], v132, s[sgprSizeI]          // coord0 < size0
v_cmp_lt_u32 s[60:61], v129, s[sgprSizeJ]          // coord1 < size1
s_and_b64 s[60:61], s[56:57], s[60:61]             // in0 && in1
_v_add_lshl_u32 v175, v130, v132, 0x3              // scaleToBpe: accumulate d0 lower and *= bpe into Cin addr
v_cndmask_b32 v175, -1, v175, s[60:61]             // LDC clip if OOB. offset
_buffer_load_b64 v[180:181], v175, s[sgprSrdC:sgprSrdC+3], 0, offen offset:0,  glc slc // load C for beta calc
_v_add_lshl_u32 v175, v131, v132, 0x3              // scaleToBpe: accumulate d0 lower and *= bpe into Cin addr
v_cndmask_b32 v175, -1, v175, s[60:61]             // LDD clip if OOB. offset
/* (d1,vc1,d0,vc0)=(1,1,0,0) */
_v_add_co_u32 v129, vcc, v129, 1                   // coord1.1: coord1Vgpr += d1*sg1*VW + vc1

/* Fix for UseInitialStridesCD, emitAddressSetupCode */
_v_add_u32 v130, v130, s[sgprStrideC1J]            // ROWINC- Move cinRowPtr to next row
_v_add_u32 v131, v131, s[sgprStrideD1J]            // Move coutRowPtr to next row
v_cmp_lt_u32 s[56:57], v128, s[sgprSizeI]          // coord0 < size0
v_cmp_lt_u32 s[60:61], v129, s[sgprSizeJ]          // coord1 < size1
s_and_b64 s[60:61], s[56:57], s[60:61]             // in0 && in1
_v_add_lshl_u32 v184, v130, v128, 0x3              // scaleToBpe: accumulate d0 lower and *= bpe into Cin addr
v_cndmask_b32 v184, -1, v184, s[60:61]             // LDC clip if OOB. offset
_buffer_load_b64 v[188:189], v184, s[sgprSrdC:sgprSrdC+3], 0, offen offset:0,  glc slc // load C for beta calc
_v_add_lshl_u32 v184, v131, v128, 0x3              // scaleToBpe: accumulate d0 lower and *= bpe into Cin addr
v_cndmask_b32 v184, -1, v184, s[60:61]             // LDD clip if OOB. offset
/* (d1,vc1,d0,vc0)=(1,1,0,1) */
_v_add_co_u32 v132, vcc, v128, 1                   // coord0.1: coord0 += d0*sg0*VW + vc0
v_cmp_lt_u32 s[56:57], v132, s[sgprSizeI]          // coord0 < size0
v_cmp_lt_u32 s[60:61], v129, s[sgprSizeJ]          // coord1 < size1
s_and_b64 s[60:61], s[56:57], s[60:61]             // in0 && in1
_v_add_lshl_u32 v185, v130, v132, 0x3              // scaleToBpe: accumulate d0 lower and *= bpe into Cin addr
v_cndmask_b32 v185, -1, v185, s[60:61]             // LDC clip if OOB. offset
_buffer_load_b64 v[192:193], v185, s[sgprSrdC:sgprSrdC+3], 0, offen offset:0,  glc slc // load C for beta calc
_v_add_lshl_u32 v185, v131, v132, 0x3              // scaleToBpe: accumulate d0 lower and *= bpe into Cin addr
v_cndmask_b32 v185, -1, v185, s[60:61]             // LDD clip if OOB. offset
/* (d1,vc1,d0,vc0)=(1,2,0,0) */
_v_add_co_u32 v129, vcc, v129, 1                   // coord1.1: coord1Vgpr += d1*sg1*VW + vc1

/* Fix for UseInitialStridesCD, emitAddressSetupCode */
_v_add_u32 v130, v130, s[sgprStrideC1J]            // ROWINC- Move cinRowPtr to next row
_v_add_u32 v131, v131, s[sgprStrideD1J]            // Move coutRowPtr to next row
	;; [unrolled: 24-line block ×3, first 2 shown]
v_cmp_lt_u32 s[56:57], v128, s[sgprSizeI]          // coord0 < size0
v_cmp_lt_u32 s[60:61], v129, s[sgprSizeJ]          // coord1 < size1
s_and_b64 s[60:61], s[56:57], s[60:61]             // in0 && in1
_v_add_lshl_u32 v206, v130, v128, 0x3              // scaleToBpe: accumulate d0 lower and *= bpe into Cin addr
v_cndmask_b32 v206, -1, v206, s[60:61]             // LDC clip if OOB. offset
_buffer_load_b64 v[208:209], v206, s[sgprSrdC:sgprSrdC+3], 0, offen offset:0,  glc slc // load C for beta calc
_v_add_lshl_u32 v206, v131, v128, 0x3              // scaleToBpe: accumulate d0 lower and *= bpe into Cin addr
v_cndmask_b32 v206, -1, v206, s[60:61]             // LDD clip if OOB. offset
/* (d1,vc1,d0,vc0)=(1,3,0,1) */
_v_add_co_u32 v132, vcc, v128, 1                   // coord0.1: coord0 += d0*sg0*VW + vc0
v_cmp_lt_u32 s[56:57], v132, s[sgprSizeI]          // coord0 < size0
v_cmp_lt_u32 s[60:61], v129, s[sgprSizeJ]          // coord1 < size1
s_and_b64 s[60:61], s[56:57], s[60:61]             // in0 && in1
_v_add_lshl_u32 v207, v130, v132, 0x3              // scaleToBpe: accumulate d0 lower and *= bpe into Cin addr
v_cndmask_b32 v207, -1, v207, s[60:61]             // LDC clip if OOB. offset
_buffer_load_b64 v[212:213], v207, s[sgprSrdC:sgprSrdC+3], 0, offen offset:0,  glc slc // load C for beta calc
_v_add_lshl_u32 v207, v131, v132, 0x3              // scaleToBpe: accumulate d0 lower and *= bpe into Cin addr
v_cndmask_b32 v207, -1, v207, s[60:61]             // LDD clip if OOB. offset
/* (d1,vc1,d0,vc0)=(2,0,0,0) */
_v_add_co_u32 v129, vcc, v129, 5                   // coord1.1: coord1Vgpr += d1*sg1*VW + vc1

/* Fix for UseInitialStridesCD, emitAddressSetupCode */
s_mul_i32 s56, s[sgprStrideC1J], 5                 // scale stride
_v_add_u32 v130, v130, s56                         // ROWINC- Move cinRowPtr to next row
s_mul_i32 s56, s[sgprStrideD1J], 5                 // scale stride
_v_add_u32 v131, v131, s56                         // Move coutRowPtr to next row
v_cmp_lt_u32 s[56:57], v128, s[sgprSizeI]          // coord0 < size0
v_cmp_lt_u32 s[60:61], v129, s[sgprSizeJ]          // coord1 < size1
s_and_b64 s[60:61], s[56:57], s[60:61]             // in0 && in1
_v_add_lshl_u32 v216, v130, v128, 0x3              // scaleToBpe: accumulate d0 lower and *= bpe into Cin addr
v_cndmask_b32 v216, -1, v216, s[60:61]             // LDC clip if OOB. offset
_buffer_load_b64 v[218:219], v216, s[sgprSrdC:sgprSrdC+3], 0, offen offset:0,  glc slc // load C for beta calc
_v_add_lshl_u32 v216, v131, v128, 0x3              // scaleToBpe: accumulate d0 lower and *= bpe into Cin addr
v_cndmask_b32 v216, -1, v216, s[60:61]             // LDD clip if OOB. offset
/* (d1,vc1,d0,vc0)=(2,0,0,1) */
_v_add_co_u32 v132, vcc, v128, 1                   // coord0.1: coord0 += d0*sg0*VW + vc0
v_cmp_lt_u32 s[56:57], v132, s[sgprSizeI]          // coord0 < size0
v_cmp_lt_u32 s[60:61], v129, s[sgprSizeJ]          // coord1 < size1
s_and_b64 s[60:61], s[56:57], s[60:61]             // in0 && in1
_v_add_lshl_u32 v217, v130, v132, 0x3              // scaleToBpe: accumulate d0 lower and *= bpe into Cin addr
v_cndmask_b32 v217, -1, v217, s[60:61]             // LDC clip if OOB. offset
_buffer_load_b64 v[222:223], v217, s[sgprSrdC:sgprSrdC+3], 0, offen offset:0,  glc slc // load C for beta calc
_v_add_lshl_u32 v217, v131, v132, 0x3              // scaleToBpe: accumulate d0 lower and *= bpe into Cin addr
v_cndmask_b32 v217, -1, v217, s[60:61]             // LDD clip if OOB. offset
/* (d1,vc1,d0,vc0)=(2,1,0,0) */
_v_add_co_u32 v129, vcc, v129, 1                   // coord1.1: coord1Vgpr += d1*sg1*VW + vc1

/* Fix for UseInitialStridesCD, emitAddressSetupCode */
_v_add_u32 v130, v130, s[sgprStrideC1J]            // ROWINC- Move cinRowPtr to next row
_v_add_u32 v131, v131, s[sgprStrideD1J]            // Move coutRowPtr to next row
v_cmp_lt_u32 s[56:57], v128, s[sgprSizeI]          // coord0 < size0
v_cmp_lt_u32 s[60:61], v129, s[sgprSizeJ]          // coord1 < size1
s_and_b64 s[60:61], s[56:57], s[60:61]             // in0 && in1
_v_add_lshl_u32 v226, v130, v128, 0x3              // scaleToBpe: accumulate d0 lower and *= bpe into Cin addr
v_cndmask_b32 v226, -1, v226, s[60:61]             // LDC clip if OOB. offset
_buffer_load_b64 v[228:229], v226, s[sgprSrdC:sgprSrdC+3], 0, offen offset:0,  glc slc // load C for beta calc
_v_add_lshl_u32 v226, v131, v128, 0x3              // scaleToBpe: accumulate d0 lower and *= bpe into Cin addr
v_cndmask_b32 v226, -1, v226, s[60:61]             // LDD clip if OOB. offset
/* (d1,vc1,d0,vc0)=(2,1,0,1) */
_v_add_co_u32 v132, vcc, v128, 1                   // coord0.1: coord0 += d0*sg0*VW + vc0
v_cmp_lt_u32 s[56:57], v132, s[sgprSizeI]          // coord0 < size0
v_cmp_lt_u32 s[60:61], v129, s[sgprSizeJ]          // coord1 < size1
s_and_b64 s[60:61], s[56:57], s[60:61]             // in0 && in1
_v_add_lshl_u32 v227, v130, v132, 0x3              // scaleToBpe: accumulate d0 lower and *= bpe into Cin addr
v_cndmask_b32 v227, -1, v227, s[60:61]             // LDC clip if OOB. offset
_buffer_load_b64 v[232:233], v227, s[sgprSrdC:sgprSrdC+3], 0, offen offset:0,  glc slc // load C for beta calc
_v_add_lshl_u32 v227, v131, v132, 0x3              // scaleToBpe: accumulate d0 lower and *= bpe into Cin addr
v_cndmask_b32 v227, -1, v227, s[60:61]             // LDD clip if OOB. offset
/* (d1,vc1,d0,vc0)=(2,2,0,0) */
_v_add_co_u32 v129, vcc, v129, 1                   // coord1.1: coord1Vgpr += d1*sg1*VW + vc1

/* Fix for UseInitialStridesCD, emitAddressSetupCode */
_v_add_u32 v130, v130, s[sgprStrideC1J]            // ROWINC- Move cinRowPtr to next row
_v_add_u32 v131, v131, s[sgprStrideD1J]            // Move coutRowPtr to next row
v_cmp_lt_u32 s[56:57], v128, s[sgprSizeI]          // coord0 < size0
v_cmp_lt_u32 s[60:61], v129, s[sgprSizeJ]          // coord1 < size1
s_and_b64 s[60:61], s[56:57], s[60:61]             // in0 && in1
_v_add_lshl_u32 v236, v130, v128, 0x3              // scaleToBpe: accumulate d0 lower and *= bpe into Cin addr
v_cndmask_b32 v236, -1, v236, s[60:61]             // LDC clip if OOB. offset
_buffer_load_b64 v[238:239], v236, s[sgprSrdC:sgprSrdC+3], 0, offen offset:0,  glc slc // load C for beta calc
_v_add_lshl_u32 v236, v131, v128, 0x3              // scaleToBpe: accumulate d0 lower and *= bpe into Cin addr
v_cndmask_b32 v236, -1, v236, s[60:61]             // LDD clip if OOB. offset
/* (d1,vc1,d0,vc0)=(2,2,0,1) */
_v_add_co_u32 v132, vcc, v128, 1                   // coord0.1: coord0 += d0*sg0*VW + vc0
v_cmp_lt_u32 s[56:57], v132, s[sgprSizeI]          // coord0 < size0
v_cmp_lt_u32 s[60:61], v129, s[sgprSizeJ]          // coord1 < size1
s_and_b64 s[60:61], s[56:57], s[60:61]             // in0 && in1
_v_add_lshl_u32 v237, v130, v132, 0x3              // scaleToBpe: accumulate d0 lower and *= bpe into Cin addr
v_cndmask_b32 v237, -1, v237, s[60:61]             // LDC clip if OOB. offset
_buffer_load_b64 v[242:243], v237, s[sgprSrdC:sgprSrdC+3], 0, offen offset:0,  glc slc // load C for beta calc
_v_add_lshl_u32 v237, v131, v132, 0x3              // scaleToBpe: accumulate d0 lower and *= bpe into Cin addr
v_cndmask_b32 v237, -1, v237, s[60:61]             // LDD clip if OOB. offset
/* (d1,vc1,d0,vc0)=(2,3,0,0) */
_v_add_co_u32 v129, vcc, v129, 1                   // coord1.1: coord1Vgpr += d1*sg1*VW + vc1

/* Fix for UseInitialStridesCD, emitAddressSetupCode */
_v_add_u32 v130, v130, s[sgprStrideC1J]            // ROWINC- Move cinRowPtr to next row
_v_add_u32 v131, v131, s[sgprStrideD1J]            // Move coutRowPtr to next row
v_cmp_lt_u32 s[56:57], v128, s[sgprSizeI]          // coord0 < size0
v_cmp_lt_u32 s[60:61], v129, s[sgprSizeJ]          // coord1 < size1
s_and_b64 s[60:61], s[56:57], s[60:61]             // in0 && in1
_v_add_lshl_u32 v246, v130, v128, 0x3              // scaleToBpe: accumulate d0 lower and *= bpe into Cin addr
v_cndmask_b32 v246, -1, v246, s[60:61]             // LDC clip if OOB. offset
_buffer_load_b64 v[248:249], v246, s[sgprSrdC:sgprSrdC+3], 0, offen offset:0,  glc slc // load C for beta calc
_v_add_lshl_u32 v246, v131, v128, 0x3              // scaleToBpe: accumulate d0 lower and *= bpe into Cin addr
v_cndmask_b32 v246, -1, v246, s[60:61]             // LDD clip if OOB. offset
s_sleep 3 // optimization: sync and wait
s_barrier
s_waitcnt vmcnt(0)                                 // wait C

/* apply mask, calc new C and issue writes */
_v_mac_f32 v[vgprValuC+138], v136, s[sgprBeta]     // finalSum Cr += old Cr * Br
_v_mac_f32 v[vgprValuC+138], v137, -s[sgprBeta+1]  // finalSum Cr += old Ci * -Bi
_v_mac_f32 v[vgprValuC+139], v137, s[sgprBeta]     // finalSum Ci += old Ci * Br
_v_mac_f32 v[vgprValuC+139], v136, s[sgprBeta+1]   // finalSum Ci += old Cr * Bi
_buffer_store_b64 v[138:139], v134, s[sgprSrdD:sgprSrdD+3], 0, offen, offset:0,  glc slc // store D
_v_mac_f32 v[vgprValuC+142], v140, s[sgprBeta]     // finalSum Cr += old Cr * Br
_v_mac_f32 v[vgprValuC+142], v141, -s[sgprBeta+1]  // finalSum Cr += old Ci * -Bi
_v_mac_f32 v[vgprValuC+143], v141, s[sgprBeta]     // finalSum Ci += old Ci * Br
_v_mac_f32 v[vgprValuC+143], v140, s[sgprBeta+1]   // finalSum Ci += old Cr * Bi
_buffer_store_b64 v[142:143], v135, s[sgprSrdD:sgprSrdD+3], 0, offen, offset:0,  glc slc // store D
	;; [unrolled: 5-line block ×23, first 2 shown]
s_nop 0                                            // 1 wait state required when next inst writes vgprs held by previous dwordx4 store inst
/* optSingleColVgpr=0 optSharedColVgpr=0 optSGPRUsage=BufferLoad_Edge_Mask optSrdIncForRow=0 */
s_sleep 3 // optimization: sync and wait
s_barrier

/******************************************/
/* Global Write Alpha Beta Edge Batch #1 (d1,d0,vc1,vc0) = */
/*    (2,0,3,1:vw1); (3,0,0,0:vw1); (3,0,0,1:vw1); (3,0,1,0:vw1); (3,0,1,1:vw1); (3,0,2,0:vw1); (3,0,2,1:vw1); (3,0,3,0:vw1); (3,0,3,1:vw1); (4,0,0,0:vw1); (4,0,0,1:vw1); (4,0,1,0:vw1); (4,0,1,1:vw1); (4,0,2,0:vw1); (4,0,2,1:vw1); (4,0,3,0:vw1); (4,0,3,1:vw1); (5,0,0,0:vw1); (5,0,0,1:vw1); (5,0,1,0:vw1); (5,0,1,1:vw1); (5,0,2,0:vw1); (5,0,2,1:vw1) */
/******************************************/

/* calc coords, apply mask, and issue loads (if necessary) */

/* rC *= alpha batchElements=[(2, 0, 3, 1), (3, 0, 0, 0), (3, 0, 0, 1), (3, 0, 1, 0), (3, 0, 1, 1), (3, 0, 2, 0), (3, 0, 2, 1), (3, 0, 3, 0), (3, 0, 3, 1), (4, 0, 0, 0), (4, 0, 0, 1), (4, 0, 1, 0), (4, 0, 1, 1), (4, 0, 2, 0), (4, 0, 2, 1), (4, 0, 3, 0), (4, 0, 3, 1), (5, 0, 0, 0), (5, 0, 0, 1), (5, 0, 1, 0), (5, 0, 1, 1), (5, 0, 2, 0), (5, 0, 2, 1)] */
v_mul_f32 v132, s[sgprAlpha+0], v[vgprValuC+27] // 
v_mul_f32 v133, s[sgprAlpha+1], v[vgprValuC+27] // 
v_fma_f32 v[vgprValuC+138], s[sgprAlpha+1], -v[vgprValuC+91], v132
v_fma_f32 v[vgprValuC+138 +1], s[sgprAlpha+0], v[vgprValuC+91], v133
v_mul_f32 v132, s[sgprAlpha+0], v[vgprValuC+12] // 
v_mul_f32 v133, s[sgprAlpha+1], v[vgprValuC+12] // 
v_fma_f32 v[vgprValuC+142], s[sgprAlpha+1], -v[vgprValuC+76], v132
v_fma_f32 v[vgprValuC+142 +1], s[sgprAlpha+0], v[vgprValuC+76], v133
	;; [unrolled: 4-line block ×23, first 2 shown]
/* (d1,vc1,d0,vc0)=(2,3,0,1) */
_v_add_co_u32 v132, vcc, v128, 1                   // coord0.1: coord0 += d0*sg0*VW + vc0
v_cmp_lt_u32 s[56:57], v132, s[sgprSizeI]          // coord0 < size0
v_cmp_lt_u32 s[60:61], v129, s[sgprSizeJ]          // coord1 < size1
s_and_b64 s[60:61], s[56:57], s[60:61]             // in0 && in1
_v_add_lshl_u32 v134, v130, v132, 0x3              // scaleToBpe: accumulate d0 lower and *= bpe into Cin addr
v_cndmask_b32 v134, -1, v134, s[60:61]             // LDC clip if OOB. offset
_buffer_load_b64 v[136:137], v134, s[sgprSrdC:sgprSrdC+3], 0, offen offset:0,  glc slc // load C for beta calc
_v_add_lshl_u32 v134, v131, v132, 0x3              // scaleToBpe: accumulate d0 lower and *= bpe into Cin addr
v_cndmask_b32 v134, -1, v134, s[60:61]             // LDD clip if OOB. offset
/* (d1,vc1,d0,vc0)=(3,0,0,0) */
_v_add_co_u32 v129, vcc, v129, 5                   // coord1.1: coord1Vgpr += d1*sg1*VW + vc1

/* Fix for UseInitialStridesCD, emitAddressSetupCode */
s_mul_i32 s56, s[sgprStrideC1J], 5                 // scale stride
_v_add_u32 v130, v130, s56                         // ROWINC- Move cinRowPtr to next row
s_mul_i32 s56, s[sgprStrideD1J], 5                 // scale stride
_v_add_u32 v131, v131, s56                         // Move coutRowPtr to next row
v_cmp_lt_u32 s[56:57], v128, s[sgprSizeI]          // coord0 < size0
v_cmp_lt_u32 s[60:61], v129, s[sgprSizeJ]          // coord1 < size1
s_and_b64 s[60:61], s[56:57], s[60:61]             // in0 && in1
_v_add_lshl_u32 v135, v130, v128, 0x3              // scaleToBpe: accumulate d0 lower and *= bpe into Cin addr
v_cndmask_b32 v135, -1, v135, s[60:61]             // LDC clip if OOB. offset
_buffer_load_b64 v[140:141], v135, s[sgprSrdC:sgprSrdC+3], 0, offen offset:0,  glc slc // load C for beta calc
_v_add_lshl_u32 v135, v131, v128, 0x3              // scaleToBpe: accumulate d0 lower and *= bpe into Cin addr
v_cndmask_b32 v135, -1, v135, s[60:61]             // LDD clip if OOB. offset
/* (d1,vc1,d0,vc0)=(3,0,0,1) */
_v_add_co_u32 v132, vcc, v128, 1                   // coord0.1: coord0 += d0*sg0*VW + vc0
v_cmp_lt_u32 s[56:57], v132, s[sgprSizeI]          // coord0 < size0
v_cmp_lt_u32 s[60:61], v129, s[sgprSizeJ]          // coord1 < size1
s_and_b64 s[60:61], s[56:57], s[60:61]             // in0 && in1
_v_add_lshl_u32 v144, v130, v132, 0x3              // scaleToBpe: accumulate d0 lower and *= bpe into Cin addr
v_cndmask_b32 v144, -1, v144, s[60:61]             // LDC clip if OOB. offset
_buffer_load_b64 v[146:147], v144, s[sgprSrdC:sgprSrdC+3], 0, offen offset:0,  glc slc // load C for beta calc
_v_add_lshl_u32 v144, v131, v132, 0x3              // scaleToBpe: accumulate d0 lower and *= bpe into Cin addr
v_cndmask_b32 v144, -1, v144, s[60:61]             // LDD clip if OOB. offset
/* (d1,vc1,d0,vc0)=(3,1,0,0) */
_v_add_co_u32 v129, vcc, v129, 1                   // coord1.1: coord1Vgpr += d1*sg1*VW + vc1

/* Fix for UseInitialStridesCD, emitAddressSetupCode */
_v_add_u32 v130, v130, s[sgprStrideC1J]            // ROWINC- Move cinRowPtr to next row
_v_add_u32 v131, v131, s[sgprStrideD1J]            // Move coutRowPtr to next row
v_cmp_lt_u32 s[56:57], v128, s[sgprSizeI]          // coord0 < size0
v_cmp_lt_u32 s[60:61], v129, s[sgprSizeJ]          // coord1 < size1
s_and_b64 s[60:61], s[56:57], s[60:61]             // in0 && in1
_v_add_lshl_u32 v145, v130, v128, 0x3              // scaleToBpe: accumulate d0 lower and *= bpe into Cin addr
v_cndmask_b32 v145, -1, v145, s[60:61]             // LDC clip if OOB. offset
_buffer_load_b64 v[150:151], v145, s[sgprSrdC:sgprSrdC+3], 0, offen offset:0,  glc slc // load C for beta calc
_v_add_lshl_u32 v145, v131, v128, 0x3              // scaleToBpe: accumulate d0 lower and *= bpe into Cin addr
v_cndmask_b32 v145, -1, v145, s[60:61]             // LDD clip if OOB. offset
/* (d1,vc1,d0,vc0)=(3,1,0,1) */
_v_add_co_u32 v132, vcc, v128, 1                   // coord0.1: coord0 += d0*sg0*VW + vc0
v_cmp_lt_u32 s[56:57], v132, s[sgprSizeI]          // coord0 < size0
v_cmp_lt_u32 s[60:61], v129, s[sgprSizeJ]          // coord1 < size1
s_and_b64 s[60:61], s[56:57], s[60:61]             // in0 && in1
_v_add_lshl_u32 v154, v130, v132, 0x3              // scaleToBpe: accumulate d0 lower and *= bpe into Cin addr
v_cndmask_b32 v154, -1, v154, s[60:61]             // LDC clip if OOB. offset
_buffer_load_b64 v[156:157], v154, s[sgprSrdC:sgprSrdC+3], 0, offen offset:0,  glc slc // load C for beta calc
_v_add_lshl_u32 v154, v131, v132, 0x3              // scaleToBpe: accumulate d0 lower and *= bpe into Cin addr
v_cndmask_b32 v154, -1, v154, s[60:61]             // LDD clip if OOB. offset
/* (d1,vc1,d0,vc0)=(3,2,0,0) */
_v_add_co_u32 v129, vcc, v129, 1                   // coord1.1: coord1Vgpr += d1*sg1*VW + vc1

/* Fix for UseInitialStridesCD, emitAddressSetupCode */
_v_add_u32 v130, v130, s[sgprStrideC1J]            // ROWINC- Move cinRowPtr to next row
_v_add_u32 v131, v131, s[sgprStrideD1J]            // Move coutRowPtr to next row
	;; [unrolled: 24-line block ×3, first 2 shown]
v_cmp_lt_u32 s[56:57], v128, s[sgprSizeI]          // coord0 < size0
v_cmp_lt_u32 s[60:61], v129, s[sgprSizeJ]          // coord1 < size1
s_and_b64 s[60:61], s[56:57], s[60:61]             // in0 && in1
_v_add_lshl_u32 v165, v130, v128, 0x3              // scaleToBpe: accumulate d0 lower and *= bpe into Cin addr
v_cndmask_b32 v165, -1, v165, s[60:61]             // LDC clip if OOB. offset
_buffer_load_b64 v[170:171], v165, s[sgprSrdC:sgprSrdC+3], 0, offen offset:0,  glc slc // load C for beta calc
_v_add_lshl_u32 v165, v131, v128, 0x3              // scaleToBpe: accumulate d0 lower and *= bpe into Cin addr
v_cndmask_b32 v165, -1, v165, s[60:61]             // LDD clip if OOB. offset
/* (d1,vc1,d0,vc0)=(3,3,0,1) */
_v_add_co_u32 v132, vcc, v128, 1                   // coord0.1: coord0 += d0*sg0*VW + vc0
v_cmp_lt_u32 s[56:57], v132, s[sgprSizeI]          // coord0 < size0
v_cmp_lt_u32 s[60:61], v129, s[sgprSizeJ]          // coord1 < size1
s_and_b64 s[60:61], s[56:57], s[60:61]             // in0 && in1
_v_add_lshl_u32 v174, v130, v132, 0x3              // scaleToBpe: accumulate d0 lower and *= bpe into Cin addr
v_cndmask_b32 v174, -1, v174, s[60:61]             // LDC clip if OOB. offset
_buffer_load_b64 v[176:177], v174, s[sgprSrdC:sgprSrdC+3], 0, offen offset:0,  glc slc // load C for beta calc
_v_add_lshl_u32 v174, v131, v132, 0x3              // scaleToBpe: accumulate d0 lower and *= bpe into Cin addr
v_cndmask_b32 v174, -1, v174, s[60:61]             // LDD clip if OOB. offset
/* (d1,vc1,d0,vc0)=(4,0,0,0) */
_v_add_co_u32 v129, vcc, v129, 5                   // coord1.1: coord1Vgpr += d1*sg1*VW + vc1

/* Fix for UseInitialStridesCD, emitAddressSetupCode */
s_mul_i32 s56, s[sgprStrideC1J], 5                 // scale stride
_v_add_u32 v130, v130, s56                         // ROWINC- Move cinRowPtr to next row
s_mul_i32 s56, s[sgprStrideD1J], 5                 // scale stride
_v_add_u32 v131, v131, s56                         // Move coutRowPtr to next row
v_cmp_lt_u32 s[56:57], v128, s[sgprSizeI]          // coord0 < size0
v_cmp_lt_u32 s[60:61], v129, s[sgprSizeJ]          // coord1 < size1
s_and_b64 s[60:61], s[56:57], s[60:61]             // in0 && in1
_v_add_lshl_u32 v175, v130, v128, 0x3              // scaleToBpe: accumulate d0 lower and *= bpe into Cin addr
v_cndmask_b32 v175, -1, v175, s[60:61]             // LDC clip if OOB. offset
_buffer_load_b64 v[180:181], v175, s[sgprSrdC:sgprSrdC+3], 0, offen offset:0,  glc slc // load C for beta calc
_v_add_lshl_u32 v175, v131, v128, 0x3              // scaleToBpe: accumulate d0 lower and *= bpe into Cin addr
v_cndmask_b32 v175, -1, v175, s[60:61]             // LDD clip if OOB. offset
/* (d1,vc1,d0,vc0)=(4,0,0,1) */
_v_add_co_u32 v132, vcc, v128, 1                   // coord0.1: coord0 += d0*sg0*VW + vc0
v_cmp_lt_u32 s[56:57], v132, s[sgprSizeI]          // coord0 < size0
v_cmp_lt_u32 s[60:61], v129, s[sgprSizeJ]          // coord1 < size1
s_and_b64 s[60:61], s[56:57], s[60:61]             // in0 && in1
_v_add_lshl_u32 v184, v130, v132, 0x3              // scaleToBpe: accumulate d0 lower and *= bpe into Cin addr
v_cndmask_b32 v184, -1, v184, s[60:61]             // LDC clip if OOB. offset
_buffer_load_b64 v[188:189], v184, s[sgprSrdC:sgprSrdC+3], 0, offen offset:0,  glc slc // load C for beta calc
_v_add_lshl_u32 v184, v131, v132, 0x3              // scaleToBpe: accumulate d0 lower and *= bpe into Cin addr
v_cndmask_b32 v184, -1, v184, s[60:61]             // LDD clip if OOB. offset
/* (d1,vc1,d0,vc0)=(4,1,0,0) */
_v_add_co_u32 v129, vcc, v129, 1                   // coord1.1: coord1Vgpr += d1*sg1*VW + vc1

/* Fix for UseInitialStridesCD, emitAddressSetupCode */
_v_add_u32 v130, v130, s[sgprStrideC1J]            // ROWINC- Move cinRowPtr to next row
_v_add_u32 v131, v131, s[sgprStrideD1J]            // Move coutRowPtr to next row
v_cmp_lt_u32 s[56:57], v128, s[sgprSizeI]          // coord0 < size0
v_cmp_lt_u32 s[60:61], v129, s[sgprSizeJ]          // coord1 < size1
s_and_b64 s[60:61], s[56:57], s[60:61]             // in0 && in1
_v_add_lshl_u32 v185, v130, v128, 0x3              // scaleToBpe: accumulate d0 lower and *= bpe into Cin addr
v_cndmask_b32 v185, -1, v185, s[60:61]             // LDC clip if OOB. offset
_buffer_load_b64 v[192:193], v185, s[sgprSrdC:sgprSrdC+3], 0, offen offset:0,  glc slc // load C for beta calc
_v_add_lshl_u32 v185, v131, v128, 0x3              // scaleToBpe: accumulate d0 lower and *= bpe into Cin addr
v_cndmask_b32 v185, -1, v185, s[60:61]             // LDD clip if OOB. offset
/* (d1,vc1,d0,vc0)=(4,1,0,1) */
_v_add_co_u32 v132, vcc, v128, 1                   // coord0.1: coord0 += d0*sg0*VW + vc0
v_cmp_lt_u32 s[56:57], v132, s[sgprSizeI]          // coord0 < size0
v_cmp_lt_u32 s[60:61], v129, s[sgprSizeJ]          // coord1 < size1
s_and_b64 s[60:61], s[56:57], s[60:61]             // in0 && in1
_v_add_lshl_u32 v196, v130, v132, 0x3              // scaleToBpe: accumulate d0 lower and *= bpe into Cin addr
v_cndmask_b32 v196, -1, v196, s[60:61]             // LDC clip if OOB. offset
_buffer_load_b64 v[198:199], v196, s[sgprSrdC:sgprSrdC+3], 0, offen offset:0,  glc slc // load C for beta calc
_v_add_lshl_u32 v196, v131, v132, 0x3              // scaleToBpe: accumulate d0 lower and *= bpe into Cin addr
v_cndmask_b32 v196, -1, v196, s[60:61]             // LDD clip if OOB. offset
/* (d1,vc1,d0,vc0)=(4,2,0,0) */
_v_add_co_u32 v129, vcc, v129, 1                   // coord1.1: coord1Vgpr += d1*sg1*VW + vc1

/* Fix for UseInitialStridesCD, emitAddressSetupCode */
_v_add_u32 v130, v130, s[sgprStrideC1J]            // ROWINC- Move cinRowPtr to next row
_v_add_u32 v131, v131, s[sgprStrideD1J]            // Move coutRowPtr to next row
	;; [unrolled: 24-line block ×3, first 2 shown]
v_cmp_lt_u32 s[56:57], v128, s[sgprSizeI]          // coord0 < size0
v_cmp_lt_u32 s[60:61], v129, s[sgprSizeJ]          // coord1 < size1
s_and_b64 s[60:61], s[56:57], s[60:61]             // in0 && in1
_v_add_lshl_u32 v207, v130, v128, 0x3              // scaleToBpe: accumulate d0 lower and *= bpe into Cin addr
v_cndmask_b32 v207, -1, v207, s[60:61]             // LDC clip if OOB. offset
_buffer_load_b64 v[212:213], v207, s[sgprSrdC:sgprSrdC+3], 0, offen offset:0,  glc slc // load C for beta calc
_v_add_lshl_u32 v207, v131, v128, 0x3              // scaleToBpe: accumulate d0 lower and *= bpe into Cin addr
v_cndmask_b32 v207, -1, v207, s[60:61]             // LDD clip if OOB. offset
/* (d1,vc1,d0,vc0)=(4,3,0,1) */
_v_add_co_u32 v132, vcc, v128, 1                   // coord0.1: coord0 += d0*sg0*VW + vc0
v_cmp_lt_u32 s[56:57], v132, s[sgprSizeI]          // coord0 < size0
v_cmp_lt_u32 s[60:61], v129, s[sgprSizeJ]          // coord1 < size1
s_and_b64 s[60:61], s[56:57], s[60:61]             // in0 && in1
_v_add_lshl_u32 v216, v130, v132, 0x3              // scaleToBpe: accumulate d0 lower and *= bpe into Cin addr
v_cndmask_b32 v216, -1, v216, s[60:61]             // LDC clip if OOB. offset
_buffer_load_b64 v[218:219], v216, s[sgprSrdC:sgprSrdC+3], 0, offen offset:0,  glc slc // load C for beta calc
_v_add_lshl_u32 v216, v131, v132, 0x3              // scaleToBpe: accumulate d0 lower and *= bpe into Cin addr
v_cndmask_b32 v216, -1, v216, s[60:61]             // LDD clip if OOB. offset
/* (d1,vc1,d0,vc0)=(5,0,0,0) */
_v_add_co_u32 v129, vcc, v129, 5                   // coord1.1: coord1Vgpr += d1*sg1*VW + vc1

/* Fix for UseInitialStridesCD, emitAddressSetupCode */
s_mul_i32 s56, s[sgprStrideC1J], 5                 // scale stride
_v_add_u32 v130, v130, s56                         // ROWINC- Move cinRowPtr to next row
s_mul_i32 s56, s[sgprStrideD1J], 5                 // scale stride
_v_add_u32 v131, v131, s56                         // Move coutRowPtr to next row
v_cmp_lt_u32 s[56:57], v128, s[sgprSizeI]          // coord0 < size0
v_cmp_lt_u32 s[60:61], v129, s[sgprSizeJ]          // coord1 < size1
s_and_b64 s[60:61], s[56:57], s[60:61]             // in0 && in1
_v_add_lshl_u32 v217, v130, v128, 0x3              // scaleToBpe: accumulate d0 lower and *= bpe into Cin addr
v_cndmask_b32 v217, -1, v217, s[60:61]             // LDC clip if OOB. offset
_buffer_load_b64 v[222:223], v217, s[sgprSrdC:sgprSrdC+3], 0, offen offset:0,  glc slc // load C for beta calc
_v_add_lshl_u32 v217, v131, v128, 0x3              // scaleToBpe: accumulate d0 lower and *= bpe into Cin addr
v_cndmask_b32 v217, -1, v217, s[60:61]             // LDD clip if OOB. offset
/* (d1,vc1,d0,vc0)=(5,0,0,1) */
_v_add_co_u32 v132, vcc, v128, 1                   // coord0.1: coord0 += d0*sg0*VW + vc0
v_cmp_lt_u32 s[56:57], v132, s[sgprSizeI]          // coord0 < size0
v_cmp_lt_u32 s[60:61], v129, s[sgprSizeJ]          // coord1 < size1
s_and_b64 s[60:61], s[56:57], s[60:61]             // in0 && in1
_v_add_lshl_u32 v226, v130, v132, 0x3              // scaleToBpe: accumulate d0 lower and *= bpe into Cin addr
v_cndmask_b32 v226, -1, v226, s[60:61]             // LDC clip if OOB. offset
_buffer_load_b64 v[228:229], v226, s[sgprSrdC:sgprSrdC+3], 0, offen offset:0,  glc slc // load C for beta calc
_v_add_lshl_u32 v226, v131, v132, 0x3              // scaleToBpe: accumulate d0 lower and *= bpe into Cin addr
v_cndmask_b32 v226, -1, v226, s[60:61]             // LDD clip if OOB. offset
/* (d1,vc1,d0,vc0)=(5,1,0,0) */
_v_add_co_u32 v129, vcc, v129, 1                   // coord1.1: coord1Vgpr += d1*sg1*VW + vc1

/* Fix for UseInitialStridesCD, emitAddressSetupCode */
_v_add_u32 v130, v130, s[sgprStrideC1J]            // ROWINC- Move cinRowPtr to next row
_v_add_u32 v131, v131, s[sgprStrideD1J]            // Move coutRowPtr to next row
v_cmp_lt_u32 s[56:57], v128, s[sgprSizeI]          // coord0 < size0
v_cmp_lt_u32 s[60:61], v129, s[sgprSizeJ]          // coord1 < size1
s_and_b64 s[60:61], s[56:57], s[60:61]             // in0 && in1
_v_add_lshl_u32 v227, v130, v128, 0x3              // scaleToBpe: accumulate d0 lower and *= bpe into Cin addr
v_cndmask_b32 v227, -1, v227, s[60:61]             // LDC clip if OOB. offset
_buffer_load_b64 v[232:233], v227, s[sgprSrdC:sgprSrdC+3], 0, offen offset:0,  glc slc // load C for beta calc
_v_add_lshl_u32 v227, v131, v128, 0x3              // scaleToBpe: accumulate d0 lower and *= bpe into Cin addr
v_cndmask_b32 v227, -1, v227, s[60:61]             // LDD clip if OOB. offset
/* (d1,vc1,d0,vc0)=(5,1,0,1) */
_v_add_co_u32 v132, vcc, v128, 1                   // coord0.1: coord0 += d0*sg0*VW + vc0
v_cmp_lt_u32 s[56:57], v132, s[sgprSizeI]          // coord0 < size0
v_cmp_lt_u32 s[60:61], v129, s[sgprSizeJ]          // coord1 < size1
s_and_b64 s[60:61], s[56:57], s[60:61]             // in0 && in1
_v_add_lshl_u32 v236, v130, v132, 0x3              // scaleToBpe: accumulate d0 lower and *= bpe into Cin addr
v_cndmask_b32 v236, -1, v236, s[60:61]             // LDC clip if OOB. offset
_buffer_load_b64 v[238:239], v236, s[sgprSrdC:sgprSrdC+3], 0, offen offset:0,  glc slc // load C for beta calc
_v_add_lshl_u32 v236, v131, v132, 0x3              // scaleToBpe: accumulate d0 lower and *= bpe into Cin addr
v_cndmask_b32 v236, -1, v236, s[60:61]             // LDD clip if OOB. offset
/* (d1,vc1,d0,vc0)=(5,2,0,0) */
_v_add_co_u32 v129, vcc, v129, 1                   // coord1.1: coord1Vgpr += d1*sg1*VW + vc1

/* Fix for UseInitialStridesCD, emitAddressSetupCode */
_v_add_u32 v130, v130, s[sgprStrideC1J]            // ROWINC- Move cinRowPtr to next row
_v_add_u32 v131, v131, s[sgprStrideD1J]            // Move coutRowPtr to next row
v_cmp_lt_u32 s[56:57], v128, s[sgprSizeI]          // coord0 < size0
v_cmp_lt_u32 s[60:61], v129, s[sgprSizeJ]          // coord1 < size1
s_and_b64 s[60:61], s[56:57], s[60:61]             // in0 && in1
_v_add_lshl_u32 v237, v130, v128, 0x3              // scaleToBpe: accumulate d0 lower and *= bpe into Cin addr
v_cndmask_b32 v237, -1, v237, s[60:61]             // LDC clip if OOB. offset
_buffer_load_b64 v[242:243], v237, s[sgprSrdC:sgprSrdC+3], 0, offen offset:0,  glc slc // load C for beta calc
_v_add_lshl_u32 v237, v131, v128, 0x3              // scaleToBpe: accumulate d0 lower and *= bpe into Cin addr
v_cndmask_b32 v237, -1, v237, s[60:61]             // LDD clip if OOB. offset
/* (d1,vc1,d0,vc0)=(5,2,0,1) */
_v_add_co_u32 v132, vcc, v128, 1                   // coord0.1: coord0 += d0*sg0*VW + vc0
v_cmp_lt_u32 s[56:57], v132, s[sgprSizeI]          // coord0 < size0
v_cmp_lt_u32 s[60:61], v129, s[sgprSizeJ]          // coord1 < size1
s_and_b64 s[60:61], s[56:57], s[60:61]             // in0 && in1
_v_add_lshl_u32 v246, v130, v132, 0x3              // scaleToBpe: accumulate d0 lower and *= bpe into Cin addr
v_cndmask_b32 v246, -1, v246, s[60:61]             // LDC clip if OOB. offset
_buffer_load_b64 v[248:249], v246, s[sgprSrdC:sgprSrdC+3], 0, offen offset:0,  glc slc // load C for beta calc
_v_add_lshl_u32 v246, v131, v132, 0x3              // scaleToBpe: accumulate d0 lower and *= bpe into Cin addr
v_cndmask_b32 v246, -1, v246, s[60:61]             // LDD clip if OOB. offset
s_sleep 3 // optimization: sync and wait
s_barrier
s_waitcnt vmcnt(0)                                 // wait C

/* apply mask, calc new C and issue writes */
_v_mac_f32 v[vgprValuC+138], v136, s[sgprBeta]     // finalSum Cr += old Cr * Br
_v_mac_f32 v[vgprValuC+138], v137, -s[sgprBeta+1]  // finalSum Cr += old Ci * -Bi
_v_mac_f32 v[vgprValuC+139], v137, s[sgprBeta]     // finalSum Ci += old Ci * Br
_v_mac_f32 v[vgprValuC+139], v136, s[sgprBeta+1]   // finalSum Ci += old Cr * Bi
_buffer_store_b64 v[138:139], v134, s[sgprSrdD:sgprSrdD+3], 0, offen, offset:0,  glc slc // store D
_v_mac_f32 v[vgprValuC+142], v140, s[sgprBeta]     // finalSum Cr += old Cr * Br
_v_mac_f32 v[vgprValuC+142], v141, -s[sgprBeta+1]  // finalSum Cr += old Ci * -Bi
_v_mac_f32 v[vgprValuC+143], v141, s[sgprBeta]     // finalSum Ci += old Ci * Br
_v_mac_f32 v[vgprValuC+143], v140, s[sgprBeta+1]   // finalSum Ci += old Cr * Bi
_buffer_store_b64 v[142:143], v135, s[sgprSrdD:sgprSrdD+3], 0, offen, offset:0,  glc slc // store D
	;; [unrolled: 5-line block ×23, first 2 shown]
s_nop 0                                            // 1 wait state required when next inst writes vgprs held by previous dwordx4 store inst
/* optSingleColVgpr=0 optSharedColVgpr=0 optSGPRUsage=BufferLoad_Edge_Mask optSrdIncForRow=0 */
s_sleep 3 // optimization: sync and wait
s_barrier

/******************************************/
/* Global Write Alpha Beta Edge Batch #2 (d1,d0,vc1,vc0) = */
/*    (5,0,3,0:vw1); (5,0,3,1:vw1); (6,0,0,0:vw1); (6,0,0,1:vw1); (6,0,1,0:vw1); (6,0,1,1:vw1); (6,0,2,0:vw1); (6,0,2,1:vw1); (6,0,3,0:vw1); (6,0,3,1:vw1); (7,0,0,0:vw1); (7,0,0,1:vw1); (7,0,1,0:vw1); (7,0,1,1:vw1); (7,0,2,0:vw1); (7,0,2,1:vw1); (7,0,3,0:vw1); (7,0,3,1:vw1) */
/******************************************/

/* calc coords, apply mask, and issue loads (if necessary) */

/* rC *= alpha batchElements=[(5, 0, 3, 0), (5, 0, 3, 1), (6, 0, 0, 0), (6, 0, 0, 1), (6, 0, 1, 0), (6, 0, 1, 1), (6, 0, 2, 0), (6, 0, 2, 1), (6, 0, 3, 0), (6, 0, 3, 1), (7, 0, 0, 0), (7, 0, 0, 1), (7, 0, 1, 0), (7, 0, 1, 1), (7, 0, 2, 0), (7, 0, 2, 1), (7, 0, 3, 0), (7, 0, 3, 1)] */
v_mul_f32 v132, s[sgprAlpha+0], v[vgprValuC+39] // 
v_mul_f32 v133, s[sgprAlpha+1], v[vgprValuC+39] // 
v_fma_f32 v[vgprValuC+138], s[sgprAlpha+1], -v[vgprValuC+103], v132
v_fma_f32 v[vgprValuC+138 +1], s[sgprAlpha+0], v[vgprValuC+103], v133
v_mul_f32 v132, s[sgprAlpha+0], v[vgprValuC+55] // 
v_mul_f32 v133, s[sgprAlpha+1], v[vgprValuC+55] // 
v_fma_f32 v[vgprValuC+142], s[sgprAlpha+1], -v[vgprValuC+119], v132
v_fma_f32 v[vgprValuC+142 +1], s[sgprAlpha+0], v[vgprValuC+119], v133
v_mul_f32 v132, s[sgprAlpha+0], v[vgprValuC+40] // 
v_mul_f32 v133, s[sgprAlpha+1], v[vgprValuC+40] // 
v_fma_f32 v[vgprValuC+148], s[sgprAlpha+1], -v[vgprValuC+104], v132
v_fma_f32 v[vgprValuC+148 +1], s[sgprAlpha+0], v[vgprValuC+104], v133
v_mul_f32 v132, s[sgprAlpha+0], v[vgprValuC+56] // 
v_mul_f32 v133, s[sgprAlpha+1], v[vgprValuC+56] // 
v_fma_f32 v[vgprValuC+152], s[sgprAlpha+1], -v[vgprValuC+120], v132
v_fma_f32 v[vgprValuC+152 +1], s[sgprAlpha+0], v[vgprValuC+120], v133
v_mul_f32 v132, s[sgprAlpha+0], v[vgprValuC+41] // 
v_mul_f32 v133, s[sgprAlpha+1], v[vgprValuC+41] // 
v_fma_f32 v[vgprValuC+158], s[sgprAlpha+1], -v[vgprValuC+105], v132
v_fma_f32 v[vgprValuC+158 +1], s[sgprAlpha+0], v[vgprValuC+105], v133
v_mul_f32 v132, s[sgprAlpha+0], v[vgprValuC+57] // 
v_mul_f32 v133, s[sgprAlpha+1], v[vgprValuC+57] // 
v_fma_f32 v[vgprValuC+162], s[sgprAlpha+1], -v[vgprValuC+121], v132
v_fma_f32 v[vgprValuC+162 +1], s[sgprAlpha+0], v[vgprValuC+121], v133
v_mul_f32 v132, s[sgprAlpha+0], v[vgprValuC+42] // 
v_mul_f32 v133, s[sgprAlpha+1], v[vgprValuC+42] // 
v_fma_f32 v[vgprValuC+168], s[sgprAlpha+1], -v[vgprValuC+106], v132
v_fma_f32 v[vgprValuC+168 +1], s[sgprAlpha+0], v[vgprValuC+106], v133
v_mul_f32 v132, s[sgprAlpha+0], v[vgprValuC+58] // 
v_mul_f32 v133, s[sgprAlpha+1], v[vgprValuC+58] // 
v_fma_f32 v[vgprValuC+172], s[sgprAlpha+1], -v[vgprValuC+122], v132
v_fma_f32 v[vgprValuC+172 +1], s[sgprAlpha+0], v[vgprValuC+122], v133
v_mul_f32 v132, s[sgprAlpha+0], v[vgprValuC+43] // 
v_mul_f32 v133, s[sgprAlpha+1], v[vgprValuC+43] // 
v_fma_f32 v[vgprValuC+178], s[sgprAlpha+1], -v[vgprValuC+107], v132
v_fma_f32 v[vgprValuC+178 +1], s[sgprAlpha+0], v[vgprValuC+107], v133
v_mul_f32 v132, s[sgprAlpha+0], v[vgprValuC+59] // 
v_mul_f32 v133, s[sgprAlpha+1], v[vgprValuC+59] // 
v_fma_f32 v[vgprValuC+182], s[sgprAlpha+1], -v[vgprValuC+123], v132
v_fma_f32 v[vgprValuC+182 +1], s[sgprAlpha+0], v[vgprValuC+123], v133
v_mul_f32 v132, s[sgprAlpha+0], v[vgprValuC+44] // 
v_mul_f32 v133, s[sgprAlpha+1], v[vgprValuC+44] // 
v_fma_f32 v[vgprValuC+190], s[sgprAlpha+1], -v[vgprValuC+108], v132
v_fma_f32 v[vgprValuC+190 +1], s[sgprAlpha+0], v[vgprValuC+108], v133
v_mul_f32 v132, s[sgprAlpha+0], v[vgprValuC+60] // 
v_mul_f32 v133, s[sgprAlpha+1], v[vgprValuC+60] // 
v_fma_f32 v[vgprValuC+194], s[sgprAlpha+1], -v[vgprValuC+124], v132
v_fma_f32 v[vgprValuC+194 +1], s[sgprAlpha+0], v[vgprValuC+124], v133
v_mul_f32 v132, s[sgprAlpha+0], v[vgprValuC+45] // 
v_mul_f32 v133, s[sgprAlpha+1], v[vgprValuC+45] // 
v_fma_f32 v[vgprValuC+200], s[sgprAlpha+1], -v[vgprValuC+109], v132
v_fma_f32 v[vgprValuC+200 +1], s[sgprAlpha+0], v[vgprValuC+109], v133
v_mul_f32 v132, s[sgprAlpha+0], v[vgprValuC+61] // 
v_mul_f32 v133, s[sgprAlpha+1], v[vgprValuC+61] // 
v_fma_f32 v[vgprValuC+204], s[sgprAlpha+1], -v[vgprValuC+125], v132
v_fma_f32 v[vgprValuC+204 +1], s[sgprAlpha+0], v[vgprValuC+125], v133
v_mul_f32 v132, s[sgprAlpha+0], v[vgprValuC+46] // 
v_mul_f32 v133, s[sgprAlpha+1], v[vgprValuC+46] // 
v_fma_f32 v[vgprValuC+210], s[sgprAlpha+1], -v[vgprValuC+110], v132
v_fma_f32 v[vgprValuC+210 +1], s[sgprAlpha+0], v[vgprValuC+110], v133
v_mul_f32 v132, s[sgprAlpha+0], v[vgprValuC+62] // 
v_mul_f32 v133, s[sgprAlpha+1], v[vgprValuC+62] // 
v_fma_f32 v[vgprValuC+214], s[sgprAlpha+1], -v[vgprValuC+126], v132
v_fma_f32 v[vgprValuC+214 +1], s[sgprAlpha+0], v[vgprValuC+126], v133
v_mul_f32 v132, s[sgprAlpha+0], v[vgprValuC+47] // 
v_mul_f32 v133, s[sgprAlpha+1], v[vgprValuC+47] // 
v_fma_f32 v[vgprValuC+220], s[sgprAlpha+1], -v[vgprValuC+111], v132
v_fma_f32 v[vgprValuC+220 +1], s[sgprAlpha+0], v[vgprValuC+111], v133
v_mul_f32 v132, s[sgprAlpha+0], v[vgprValuC+63] // 
v_mul_f32 v133, s[sgprAlpha+1], v[vgprValuC+63] // 
v_fma_f32 v[vgprValuC+224], s[sgprAlpha+1], -v[vgprValuC+127], v132
v_fma_f32 v[vgprValuC+224 +1], s[sgprAlpha+0], v[vgprValuC+127], v133
/* (d1,vc1,d0,vc0)=(5,3,0,0) */
_v_add_co_u32 v129, vcc, v129, 1                   // coord1.1: coord1Vgpr += d1*sg1*VW + vc1

/* Fix for UseInitialStridesCD, emitAddressSetupCode */
_v_add_u32 v130, v130, s[sgprStrideC1J]            // ROWINC- Move cinRowPtr to next row
_v_add_u32 v131, v131, s[sgprStrideD1J]            // Move coutRowPtr to next row
v_cmp_lt_u32 s[56:57], v128, s[sgprSizeI]          // coord0 < size0
v_cmp_lt_u32 s[60:61], v129, s[sgprSizeJ]          // coord1 < size1
s_and_b64 s[60:61], s[56:57], s[60:61]             // in0 && in1
_v_add_lshl_u32 v134, v130, v128, 0x3              // scaleToBpe: accumulate d0 lower and *= bpe into Cin addr
v_cndmask_b32 v134, -1, v134, s[60:61]             // LDC clip if OOB. offset
_buffer_load_b64 v[136:137], v134, s[sgprSrdC:sgprSrdC+3], 0, offen offset:0,  glc slc // load C for beta calc
_v_add_lshl_u32 v134, v131, v128, 0x3              // scaleToBpe: accumulate d0 lower and *= bpe into Cin addr
v_cndmask_b32 v134, -1, v134, s[60:61]             // LDD clip if OOB. offset
/* (d1,vc1,d0,vc0)=(5,3,0,1) */
_v_add_co_u32 v132, vcc, v128, 1                   // coord0.1: coord0 += d0*sg0*VW + vc0
v_cmp_lt_u32 s[56:57], v132, s[sgprSizeI]          // coord0 < size0
v_cmp_lt_u32 s[60:61], v129, s[sgprSizeJ]          // coord1 < size1
s_and_b64 s[60:61], s[56:57], s[60:61]             // in0 && in1
_v_add_lshl_u32 v135, v130, v132, 0x3              // scaleToBpe: accumulate d0 lower and *= bpe into Cin addr
v_cndmask_b32 v135, -1, v135, s[60:61]             // LDC clip if OOB. offset
_buffer_load_b64 v[140:141], v135, s[sgprSrdC:sgprSrdC+3], 0, offen offset:0,  glc slc // load C for beta calc
_v_add_lshl_u32 v135, v131, v132, 0x3              // scaleToBpe: accumulate d0 lower and *= bpe into Cin addr
v_cndmask_b32 v135, -1, v135, s[60:61]             // LDD clip if OOB. offset
/* (d1,vc1,d0,vc0)=(6,0,0,0) */
_v_add_co_u32 v129, vcc, v129, 5                   // coord1.1: coord1Vgpr += d1*sg1*VW + vc1

/* Fix for UseInitialStridesCD, emitAddressSetupCode */
s_mul_i32 s56, s[sgprStrideC1J], 5                 // scale stride
_v_add_u32 v130, v130, s56                         // ROWINC- Move cinRowPtr to next row
s_mul_i32 s56, s[sgprStrideD1J], 5                 // scale stride
_v_add_u32 v131, v131, s56                         // Move coutRowPtr to next row
v_cmp_lt_u32 s[56:57], v128, s[sgprSizeI]          // coord0 < size0
v_cmp_lt_u32 s[60:61], v129, s[sgprSizeJ]          // coord1 < size1
s_and_b64 s[60:61], s[56:57], s[60:61]             // in0 && in1
_v_add_lshl_u32 v144, v130, v128, 0x3              // scaleToBpe: accumulate d0 lower and *= bpe into Cin addr
v_cndmask_b32 v144, -1, v144, s[60:61]             // LDC clip if OOB. offset
_buffer_load_b64 v[146:147], v144, s[sgprSrdC:sgprSrdC+3], 0, offen offset:0,  glc slc // load C for beta calc
_v_add_lshl_u32 v144, v131, v128, 0x3              // scaleToBpe: accumulate d0 lower and *= bpe into Cin addr
v_cndmask_b32 v144, -1, v144, s[60:61]             // LDD clip if OOB. offset
/* (d1,vc1,d0,vc0)=(6,0,0,1) */
_v_add_co_u32 v132, vcc, v128, 1                   // coord0.1: coord0 += d0*sg0*VW + vc0
v_cmp_lt_u32 s[56:57], v132, s[sgprSizeI]          // coord0 < size0
v_cmp_lt_u32 s[60:61], v129, s[sgprSizeJ]          // coord1 < size1
s_and_b64 s[60:61], s[56:57], s[60:61]             // in0 && in1
_v_add_lshl_u32 v145, v130, v132, 0x3              // scaleToBpe: accumulate d0 lower and *= bpe into Cin addr
v_cndmask_b32 v145, -1, v145, s[60:61]             // LDC clip if OOB. offset
_buffer_load_b64 v[150:151], v145, s[sgprSrdC:sgprSrdC+3], 0, offen offset:0,  glc slc // load C for beta calc
_v_add_lshl_u32 v145, v131, v132, 0x3              // scaleToBpe: accumulate d0 lower and *= bpe into Cin addr
v_cndmask_b32 v145, -1, v145, s[60:61]             // LDD clip if OOB. offset
/* (d1,vc1,d0,vc0)=(6,1,0,0) */
_v_add_co_u32 v129, vcc, v129, 1                   // coord1.1: coord1Vgpr += d1*sg1*VW + vc1

/* Fix for UseInitialStridesCD, emitAddressSetupCode */
_v_add_u32 v130, v130, s[sgprStrideC1J]            // ROWINC- Move cinRowPtr to next row
_v_add_u32 v131, v131, s[sgprStrideD1J]            // Move coutRowPtr to next row
v_cmp_lt_u32 s[56:57], v128, s[sgprSizeI]          // coord0 < size0
v_cmp_lt_u32 s[60:61], v129, s[sgprSizeJ]          // coord1 < size1
s_and_b64 s[60:61], s[56:57], s[60:61]             // in0 && in1
_v_add_lshl_u32 v154, v130, v128, 0x3              // scaleToBpe: accumulate d0 lower and *= bpe into Cin addr
v_cndmask_b32 v154, -1, v154, s[60:61]             // LDC clip if OOB. offset
_buffer_load_b64 v[156:157], v154, s[sgprSrdC:sgprSrdC+3], 0, offen offset:0,  glc slc // load C for beta calc
_v_add_lshl_u32 v154, v131, v128, 0x3              // scaleToBpe: accumulate d0 lower and *= bpe into Cin addr
v_cndmask_b32 v154, -1, v154, s[60:61]             // LDD clip if OOB. offset
/* (d1,vc1,d0,vc0)=(6,1,0,1) */
_v_add_co_u32 v132, vcc, v128, 1                   // coord0.1: coord0 += d0*sg0*VW + vc0
v_cmp_lt_u32 s[56:57], v132, s[sgprSizeI]          // coord0 < size0
v_cmp_lt_u32 s[60:61], v129, s[sgprSizeJ]          // coord1 < size1
s_and_b64 s[60:61], s[56:57], s[60:61]             // in0 && in1
_v_add_lshl_u32 v155, v130, v132, 0x3              // scaleToBpe: accumulate d0 lower and *= bpe into Cin addr
v_cndmask_b32 v155, -1, v155, s[60:61]             // LDC clip if OOB. offset
_buffer_load_b64 v[160:161], v155, s[sgprSrdC:sgprSrdC+3], 0, offen offset:0,  glc slc // load C for beta calc
_v_add_lshl_u32 v155, v131, v132, 0x3              // scaleToBpe: accumulate d0 lower and *= bpe into Cin addr
v_cndmask_b32 v155, -1, v155, s[60:61]             // LDD clip if OOB. offset
/* (d1,vc1,d0,vc0)=(6,2,0,0) */
_v_add_co_u32 v129, vcc, v129, 1                   // coord1.1: coord1Vgpr += d1*sg1*VW + vc1

/* Fix for UseInitialStridesCD, emitAddressSetupCode */
_v_add_u32 v130, v130, s[sgprStrideC1J]            // ROWINC- Move cinRowPtr to next row
_v_add_u32 v131, v131, s[sgprStrideD1J]            // Move coutRowPtr to next row
	;; [unrolled: 24-line block ×3, first 2 shown]
v_cmp_lt_u32 s[56:57], v128, s[sgprSizeI]          // coord0 < size0
v_cmp_lt_u32 s[60:61], v129, s[sgprSizeJ]          // coord1 < size1
s_and_b64 s[60:61], s[56:57], s[60:61]             // in0 && in1
_v_add_lshl_u32 v174, v130, v128, 0x3              // scaleToBpe: accumulate d0 lower and *= bpe into Cin addr
v_cndmask_b32 v174, -1, v174, s[60:61]             // LDC clip if OOB. offset
_buffer_load_b64 v[176:177], v174, s[sgprSrdC:sgprSrdC+3], 0, offen offset:0,  glc slc // load C for beta calc
_v_add_lshl_u32 v174, v131, v128, 0x3              // scaleToBpe: accumulate d0 lower and *= bpe into Cin addr
v_cndmask_b32 v174, -1, v174, s[60:61]             // LDD clip if OOB. offset
/* (d1,vc1,d0,vc0)=(6,3,0,1) */
_v_add_co_u32 v132, vcc, v128, 1                   // coord0.1: coord0 += d0*sg0*VW + vc0
v_cmp_lt_u32 s[56:57], v132, s[sgprSizeI]          // coord0 < size0
v_cmp_lt_u32 s[60:61], v129, s[sgprSizeJ]          // coord1 < size1
s_and_b64 s[60:61], s[56:57], s[60:61]             // in0 && in1
_v_add_lshl_u32 v175, v130, v132, 0x3              // scaleToBpe: accumulate d0 lower and *= bpe into Cin addr
v_cndmask_b32 v175, -1, v175, s[60:61]             // LDC clip if OOB. offset
_buffer_load_b64 v[180:181], v175, s[sgprSrdC:sgprSrdC+3], 0, offen offset:0,  glc slc // load C for beta calc
_v_add_lshl_u32 v175, v131, v132, 0x3              // scaleToBpe: accumulate d0 lower and *= bpe into Cin addr
v_cndmask_b32 v175, -1, v175, s[60:61]             // LDD clip if OOB. offset
/* (d1,vc1,d0,vc0)=(7,0,0,0) */
_v_add_co_u32 v129, vcc, v129, 5                   // coord1.1: coord1Vgpr += d1*sg1*VW + vc1

/* Fix for UseInitialStridesCD, emitAddressSetupCode */
s_mul_i32 s56, s[sgprStrideC1J], 5                 // scale stride
_v_add_u32 v130, v130, s56                         // ROWINC- Move cinRowPtr to next row
s_mul_i32 s56, s[sgprStrideD1J], 5                 // scale stride
_v_add_u32 v131, v131, s56                         // Move coutRowPtr to next row
v_cmp_lt_u32 s[56:57], v128, s[sgprSizeI]          // coord0 < size0
v_cmp_lt_u32 s[60:61], v129, s[sgprSizeJ]          // coord1 < size1
s_and_b64 s[60:61], s[56:57], s[60:61]             // in0 && in1
_v_add_lshl_u32 v184, v130, v128, 0x3              // scaleToBpe: accumulate d0 lower and *= bpe into Cin addr
v_cndmask_b32 v184, -1, v184, s[60:61]             // LDC clip if OOB. offset
_buffer_load_b64 v[188:189], v184, s[sgprSrdC:sgprSrdC+3], 0, offen offset:0,  glc slc // load C for beta calc
_v_add_lshl_u32 v184, v131, v128, 0x3              // scaleToBpe: accumulate d0 lower and *= bpe into Cin addr
v_cndmask_b32 v184, -1, v184, s[60:61]             // LDD clip if OOB. offset
/* (d1,vc1,d0,vc0)=(7,0,0,1) */
_v_add_co_u32 v132, vcc, v128, 1                   // coord0.1: coord0 += d0*sg0*VW + vc0
v_cmp_lt_u32 s[56:57], v132, s[sgprSizeI]          // coord0 < size0
v_cmp_lt_u32 s[60:61], v129, s[sgprSizeJ]          // coord1 < size1
s_and_b64 s[60:61], s[56:57], s[60:61]             // in0 && in1
_v_add_lshl_u32 v185, v130, v132, 0x3              // scaleToBpe: accumulate d0 lower and *= bpe into Cin addr
v_cndmask_b32 v185, -1, v185, s[60:61]             // LDC clip if OOB. offset
_buffer_load_b64 v[192:193], v185, s[sgprSrdC:sgprSrdC+3], 0, offen offset:0,  glc slc // load C for beta calc
_v_add_lshl_u32 v185, v131, v132, 0x3              // scaleToBpe: accumulate d0 lower and *= bpe into Cin addr
v_cndmask_b32 v185, -1, v185, s[60:61]             // LDD clip if OOB. offset
/* (d1,vc1,d0,vc0)=(7,1,0,0) */
_v_add_co_u32 v129, vcc, v129, 1                   // coord1.1: coord1Vgpr += d1*sg1*VW + vc1

/* Fix for UseInitialStridesCD, emitAddressSetupCode */
_v_add_u32 v130, v130, s[sgprStrideC1J]            // ROWINC- Move cinRowPtr to next row
_v_add_u32 v131, v131, s[sgprStrideD1J]            // Move coutRowPtr to next row
v_cmp_lt_u32 s[56:57], v128, s[sgprSizeI]          // coord0 < size0
v_cmp_lt_u32 s[60:61], v129, s[sgprSizeJ]          // coord1 < size1
s_and_b64 s[60:61], s[56:57], s[60:61]             // in0 && in1
_v_add_lshl_u32 v196, v130, v128, 0x3              // scaleToBpe: accumulate d0 lower and *= bpe into Cin addr
v_cndmask_b32 v196, -1, v196, s[60:61]             // LDC clip if OOB. offset
_buffer_load_b64 v[198:199], v196, s[sgprSrdC:sgprSrdC+3], 0, offen offset:0,  glc slc // load C for beta calc
_v_add_lshl_u32 v196, v131, v128, 0x3              // scaleToBpe: accumulate d0 lower and *= bpe into Cin addr
v_cndmask_b32 v196, -1, v196, s[60:61]             // LDD clip if OOB. offset
/* (d1,vc1,d0,vc0)=(7,1,0,1) */
_v_add_co_u32 v132, vcc, v128, 1                   // coord0.1: coord0 += d0*sg0*VW + vc0
v_cmp_lt_u32 s[56:57], v132, s[sgprSizeI]          // coord0 < size0
v_cmp_lt_u32 s[60:61], v129, s[sgprSizeJ]          // coord1 < size1
s_and_b64 s[60:61], s[56:57], s[60:61]             // in0 && in1
_v_add_lshl_u32 v197, v130, v132, 0x3              // scaleToBpe: accumulate d0 lower and *= bpe into Cin addr
v_cndmask_b32 v197, -1, v197, s[60:61]             // LDC clip if OOB. offset
_buffer_load_b64 v[202:203], v197, s[sgprSrdC:sgprSrdC+3], 0, offen offset:0,  glc slc // load C for beta calc
_v_add_lshl_u32 v197, v131, v132, 0x3              // scaleToBpe: accumulate d0 lower and *= bpe into Cin addr
v_cndmask_b32 v197, -1, v197, s[60:61]             // LDD clip if OOB. offset
/* (d1,vc1,d0,vc0)=(7,2,0,0) */
_v_add_co_u32 v129, vcc, v129, 1                   // coord1.1: coord1Vgpr += d1*sg1*VW + vc1

/* Fix for UseInitialStridesCD, emitAddressSetupCode */
_v_add_u32 v130, v130, s[sgprStrideC1J]            // ROWINC- Move cinRowPtr to next row
_v_add_u32 v131, v131, s[sgprStrideD1J]            // Move coutRowPtr to next row
	;; [unrolled: 24-line block ×3, first 2 shown]
v_cmp_lt_u32 s[56:57], v128, s[sgprSizeI]          // coord0 < size0
v_cmp_lt_u32 s[60:61], v129, s[sgprSizeJ]          // coord1 < size1
s_and_b64 s[60:61], s[56:57], s[60:61]             // in0 && in1
_v_add_lshl_u32 v216, v130, v128, 0x3              // scaleToBpe: accumulate d0 lower and *= bpe into Cin addr
v_cndmask_b32 v216, -1, v216, s[60:61]             // LDC clip if OOB. offset
_buffer_load_b64 v[218:219], v216, s[sgprSrdC:sgprSrdC+3], 0, offen offset:0,  glc slc // load C for beta calc
_v_add_lshl_u32 v216, v131, v128, 0x3              // scaleToBpe: accumulate d0 lower and *= bpe into Cin addr
v_cndmask_b32 v216, -1, v216, s[60:61]             // LDD clip if OOB. offset
/* (d1,vc1,d0,vc0)=(7,3,0,1) */
_v_add_co_u32 v132, vcc, v128, 1                   // coord0.1: coord0 += d0*sg0*VW + vc0
v_cmp_lt_u32 s[56:57], v132, s[sgprSizeI]          // coord0 < size0
v_cmp_lt_u32 s[60:61], v129, s[sgprSizeJ]          // coord1 < size1
s_and_b64 s[60:61], s[56:57], s[60:61]             // in0 && in1
_v_add_lshl_u32 v217, v130, v132, 0x3              // scaleToBpe: accumulate d0 lower and *= bpe into Cin addr
v_cndmask_b32 v217, -1, v217, s[60:61]             // LDC clip if OOB. offset
_buffer_load_b64 v[222:223], v217, s[sgprSrdC:sgprSrdC+3], 0, offen offset:0,  glc slc // load C for beta calc
_v_add_lshl_u32 v217, v131, v132, 0x3              // scaleToBpe: accumulate d0 lower and *= bpe into Cin addr
v_cndmask_b32 v217, -1, v217, s[60:61]             // LDD clip if OOB. offset
s_sleep 3 // optimization: sync and wait
s_barrier
s_waitcnt vmcnt(0)                                 // wait C

/* apply mask, calc new C and issue writes */
_v_mac_f32 v[vgprValuC+138], v136, s[sgprBeta]     // finalSum Cr += old Cr * Br
_v_mac_f32 v[vgprValuC+138], v137, -s[sgprBeta+1]  // finalSum Cr += old Ci * -Bi
_v_mac_f32 v[vgprValuC+139], v137, s[sgprBeta]     // finalSum Ci += old Ci * Br
_v_mac_f32 v[vgprValuC+139], v136, s[sgprBeta+1]   // finalSum Ci += old Cr * Bi
_buffer_store_b64 v[138:139], v134, s[sgprSrdD:sgprSrdD+3], 0, offen, offset:0,  glc slc // store D
_v_mac_f32 v[vgprValuC+142], v140, s[sgprBeta]     // finalSum Cr += old Cr * Br
_v_mac_f32 v[vgprValuC+142], v141, -s[sgprBeta+1]  // finalSum Cr += old Ci * -Bi
_v_mac_f32 v[vgprValuC+143], v141, s[sgprBeta]     // finalSum Ci += old Ci * Br
_v_mac_f32 v[vgprValuC+143], v140, s[sgprBeta+1]   // finalSum Ci += old Cr * Bi
_buffer_store_b64 v[142:143], v135, s[sgprSrdD:sgprSrdD+3], 0, offen, offset:0,  glc slc // store D
	;; [unrolled: 5-line block ×18, first 2 shown]
s_nop 0                                            // 1 wait state required when next inst writes vgprs held by previous dwordx4 store inst
s_branch label_GW_End_106                          // jump to end
label_GW_End_106:

label_0111:  /// KernelEnd
s_endpgm                                           // Kernel End

